;; amdgpu-corpus repo=ROCm/rocFFT kind=compiled arch=gfx1030 opt=O3
	.text
	.amdgcn_target "amdgcn-amd-amdhsa--gfx1030"
	.amdhsa_code_object_version 6
	.protected	fft_rtc_back_len1248_factors_2_2_13_2_3_2_2_wgs_52_tpt_52_halfLds_dp_op_CI_CI_unitstride_sbrr_R2C_dirReg ; -- Begin function fft_rtc_back_len1248_factors_2_2_13_2_3_2_2_wgs_52_tpt_52_halfLds_dp_op_CI_CI_unitstride_sbrr_R2C_dirReg
	.globl	fft_rtc_back_len1248_factors_2_2_13_2_3_2_2_wgs_52_tpt_52_halfLds_dp_op_CI_CI_unitstride_sbrr_R2C_dirReg
	.p2align	8
	.type	fft_rtc_back_len1248_factors_2_2_13_2_3_2_2_wgs_52_tpt_52_halfLds_dp_op_CI_CI_unitstride_sbrr_R2C_dirReg,@function
fft_rtc_back_len1248_factors_2_2_13_2_3_2_2_wgs_52_tpt_52_halfLds_dp_op_CI_CI_unitstride_sbrr_R2C_dirReg: ; @fft_rtc_back_len1248_factors_2_2_13_2_3_2_2_wgs_52_tpt_52_halfLds_dp_op_CI_CI_unitstride_sbrr_R2C_dirReg
; %bb.0:
	s_clause 0x2
	s_load_dwordx4 s[12:15], s[4:5], 0x0
	s_load_dwordx4 s[8:11], s[4:5], 0x58
	;; [unrolled: 1-line block ×3, first 2 shown]
	v_mul_u32_u24_e32 v1, 0x4ed, v0
	v_mov_b32_e32 v3, 0
	v_add_nc_u32_sdwa v5, s6, v1 dst_sel:DWORD dst_unused:UNUSED_PAD src0_sel:DWORD src1_sel:WORD_1
	v_mov_b32_e32 v1, 0
	v_mov_b32_e32 v6, v3
	v_mov_b32_e32 v2, 0
	s_waitcnt lgkmcnt(0)
	v_cmp_lt_u64_e64 s0, s[14:15], 2
	s_and_b32 vcc_lo, exec_lo, s0
	s_cbranch_vccnz .LBB0_8
; %bb.1:
	s_load_dwordx2 s[0:1], s[4:5], 0x10
	v_mov_b32_e32 v1, 0
	v_mov_b32_e32 v2, 0
	s_add_u32 s2, s18, 8
	s_addc_u32 s3, s19, 0
	s_add_u32 s6, s16, 8
	s_addc_u32 s7, s17, 0
	v_mov_b32_e32 v139, v2
	v_mov_b32_e32 v138, v1
	s_mov_b64 s[22:23], 1
	s_waitcnt lgkmcnt(0)
	s_add_u32 s20, s0, 8
	s_addc_u32 s21, s1, 0
.LBB0_2:                                ; =>This Inner Loop Header: Depth=1
	s_load_dwordx2 s[24:25], s[20:21], 0x0
                                        ; implicit-def: $vgpr140_vgpr141
	s_mov_b32 s0, exec_lo
	s_waitcnt lgkmcnt(0)
	v_or_b32_e32 v4, s25, v6
	v_cmpx_ne_u64_e32 0, v[3:4]
	s_xor_b32 s1, exec_lo, s0
	s_cbranch_execz .LBB0_4
; %bb.3:                                ;   in Loop: Header=BB0_2 Depth=1
	v_cvt_f32_u32_e32 v4, s24
	v_cvt_f32_u32_e32 v7, s25
	s_sub_u32 s0, 0, s24
	s_subb_u32 s26, 0, s25
	v_fmac_f32_e32 v4, 0x4f800000, v7
	v_rcp_f32_e32 v4, v4
	v_mul_f32_e32 v4, 0x5f7ffffc, v4
	v_mul_f32_e32 v7, 0x2f800000, v4
	v_trunc_f32_e32 v7, v7
	v_fmac_f32_e32 v4, 0xcf800000, v7
	v_cvt_u32_f32_e32 v7, v7
	v_cvt_u32_f32_e32 v4, v4
	v_mul_lo_u32 v8, s0, v7
	v_mul_hi_u32 v9, s0, v4
	v_mul_lo_u32 v10, s26, v4
	v_add_nc_u32_e32 v8, v9, v8
	v_mul_lo_u32 v9, s0, v4
	v_add_nc_u32_e32 v8, v8, v10
	v_mul_hi_u32 v10, v4, v9
	v_mul_lo_u32 v11, v4, v8
	v_mul_hi_u32 v12, v4, v8
	v_mul_hi_u32 v13, v7, v9
	v_mul_lo_u32 v9, v7, v9
	v_mul_hi_u32 v14, v7, v8
	v_mul_lo_u32 v8, v7, v8
	v_add_co_u32 v10, vcc_lo, v10, v11
	v_add_co_ci_u32_e32 v11, vcc_lo, 0, v12, vcc_lo
	v_add_co_u32 v9, vcc_lo, v10, v9
	v_add_co_ci_u32_e32 v9, vcc_lo, v11, v13, vcc_lo
	v_add_co_ci_u32_e32 v10, vcc_lo, 0, v14, vcc_lo
	v_add_co_u32 v8, vcc_lo, v9, v8
	v_add_co_ci_u32_e32 v9, vcc_lo, 0, v10, vcc_lo
	v_add_co_u32 v4, vcc_lo, v4, v8
	v_add_co_ci_u32_e32 v7, vcc_lo, v7, v9, vcc_lo
	v_mul_hi_u32 v8, s0, v4
	v_mul_lo_u32 v10, s26, v4
	v_mul_lo_u32 v9, s0, v7
	v_add_nc_u32_e32 v8, v8, v9
	v_mul_lo_u32 v9, s0, v4
	v_add_nc_u32_e32 v8, v8, v10
	v_mul_hi_u32 v10, v4, v9
	v_mul_lo_u32 v11, v4, v8
	v_mul_hi_u32 v12, v4, v8
	v_mul_hi_u32 v13, v7, v9
	v_mul_lo_u32 v9, v7, v9
	v_mul_hi_u32 v14, v7, v8
	v_mul_lo_u32 v8, v7, v8
	v_add_co_u32 v10, vcc_lo, v10, v11
	v_add_co_ci_u32_e32 v11, vcc_lo, 0, v12, vcc_lo
	v_add_co_u32 v9, vcc_lo, v10, v9
	v_add_co_ci_u32_e32 v9, vcc_lo, v11, v13, vcc_lo
	v_add_co_ci_u32_e32 v10, vcc_lo, 0, v14, vcc_lo
	v_add_co_u32 v8, vcc_lo, v9, v8
	v_add_co_ci_u32_e32 v9, vcc_lo, 0, v10, vcc_lo
	v_add_co_u32 v4, vcc_lo, v4, v8
	v_add_co_ci_u32_e32 v11, vcc_lo, v7, v9, vcc_lo
	v_mul_hi_u32 v13, v5, v4
	v_mad_u64_u32 v[9:10], null, v6, v4, 0
	v_mad_u64_u32 v[7:8], null, v5, v11, 0
	;; [unrolled: 1-line block ×3, first 2 shown]
	v_add_co_u32 v4, vcc_lo, v13, v7
	v_add_co_ci_u32_e32 v7, vcc_lo, 0, v8, vcc_lo
	v_add_co_u32 v4, vcc_lo, v4, v9
	v_add_co_ci_u32_e32 v4, vcc_lo, v7, v10, vcc_lo
	v_add_co_ci_u32_e32 v7, vcc_lo, 0, v12, vcc_lo
	v_add_co_u32 v4, vcc_lo, v4, v11
	v_add_co_ci_u32_e32 v9, vcc_lo, 0, v7, vcc_lo
	v_mul_lo_u32 v10, s25, v4
	v_mad_u64_u32 v[7:8], null, s24, v4, 0
	v_mul_lo_u32 v11, s24, v9
	v_sub_co_u32 v7, vcc_lo, v5, v7
	v_add3_u32 v8, v8, v11, v10
	v_sub_nc_u32_e32 v10, v6, v8
	v_subrev_co_ci_u32_e64 v10, s0, s25, v10, vcc_lo
	v_add_co_u32 v11, s0, v4, 2
	v_add_co_ci_u32_e64 v12, s0, 0, v9, s0
	v_sub_co_u32 v13, s0, v7, s24
	v_sub_co_ci_u32_e32 v8, vcc_lo, v6, v8, vcc_lo
	v_subrev_co_ci_u32_e64 v10, s0, 0, v10, s0
	v_cmp_le_u32_e32 vcc_lo, s24, v13
	v_cmp_eq_u32_e64 s0, s25, v8
	v_cndmask_b32_e64 v13, 0, -1, vcc_lo
	v_cmp_le_u32_e32 vcc_lo, s25, v10
	v_cndmask_b32_e64 v14, 0, -1, vcc_lo
	v_cmp_le_u32_e32 vcc_lo, s24, v7
	;; [unrolled: 2-line block ×3, first 2 shown]
	v_cndmask_b32_e64 v15, 0, -1, vcc_lo
	v_cmp_eq_u32_e32 vcc_lo, s25, v10
	v_cndmask_b32_e64 v7, v15, v7, s0
	v_cndmask_b32_e32 v10, v14, v13, vcc_lo
	v_add_co_u32 v13, vcc_lo, v4, 1
	v_add_co_ci_u32_e32 v14, vcc_lo, 0, v9, vcc_lo
	v_cmp_ne_u32_e32 vcc_lo, 0, v10
	v_cndmask_b32_e32 v8, v14, v12, vcc_lo
	v_cndmask_b32_e32 v10, v13, v11, vcc_lo
	v_cmp_ne_u32_e32 vcc_lo, 0, v7
	v_cndmask_b32_e32 v141, v9, v8, vcc_lo
	v_cndmask_b32_e32 v140, v4, v10, vcc_lo
.LBB0_4:                                ;   in Loop: Header=BB0_2 Depth=1
	s_andn2_saveexec_b32 s0, s1
	s_cbranch_execz .LBB0_6
; %bb.5:                                ;   in Loop: Header=BB0_2 Depth=1
	v_cvt_f32_u32_e32 v4, s24
	s_sub_i32 s1, 0, s24
	v_mov_b32_e32 v141, v3
	v_rcp_iflag_f32_e32 v4, v4
	v_mul_f32_e32 v4, 0x4f7ffffe, v4
	v_cvt_u32_f32_e32 v4, v4
	v_mul_lo_u32 v7, s1, v4
	v_mul_hi_u32 v7, v4, v7
	v_add_nc_u32_e32 v4, v4, v7
	v_mul_hi_u32 v4, v5, v4
	v_mul_lo_u32 v7, v4, s24
	v_add_nc_u32_e32 v8, 1, v4
	v_sub_nc_u32_e32 v7, v5, v7
	v_subrev_nc_u32_e32 v9, s24, v7
	v_cmp_le_u32_e32 vcc_lo, s24, v7
	v_cndmask_b32_e32 v7, v7, v9, vcc_lo
	v_cndmask_b32_e32 v4, v4, v8, vcc_lo
	v_cmp_le_u32_e32 vcc_lo, s24, v7
	v_add_nc_u32_e32 v8, 1, v4
	v_cndmask_b32_e32 v140, v4, v8, vcc_lo
.LBB0_6:                                ;   in Loop: Header=BB0_2 Depth=1
	s_or_b32 exec_lo, exec_lo, s0
	v_mul_lo_u32 v4, v141, s24
	v_mul_lo_u32 v9, v140, s25
	s_load_dwordx2 s[0:1], s[6:7], 0x0
	v_mad_u64_u32 v[7:8], null, v140, s24, 0
	s_load_dwordx2 s[24:25], s[2:3], 0x0
	s_add_u32 s22, s22, 1
	s_addc_u32 s23, s23, 0
	s_add_u32 s2, s2, 8
	s_addc_u32 s3, s3, 0
	s_add_u32 s6, s6, 8
	v_add3_u32 v4, v8, v9, v4
	v_sub_co_u32 v5, vcc_lo, v5, v7
	s_addc_u32 s7, s7, 0
	s_add_u32 s20, s20, 8
	v_sub_co_ci_u32_e32 v4, vcc_lo, v6, v4, vcc_lo
	s_addc_u32 s21, s21, 0
	s_waitcnt lgkmcnt(0)
	v_mul_lo_u32 v6, s0, v4
	v_mul_lo_u32 v7, s1, v5
	v_mad_u64_u32 v[1:2], null, s0, v5, v[1:2]
	v_mul_lo_u32 v4, s24, v4
	v_mul_lo_u32 v8, s25, v5
	v_mad_u64_u32 v[138:139], null, s24, v5, v[138:139]
	v_cmp_ge_u64_e64 s0, s[22:23], s[14:15]
	v_add3_u32 v2, v7, v2, v6
	v_add3_u32 v139, v8, v139, v4
	s_and_b32 vcc_lo, exec_lo, s0
	s_cbranch_vccnz .LBB0_9
; %bb.7:                                ;   in Loop: Header=BB0_2 Depth=1
	v_mov_b32_e32 v5, v140
	v_mov_b32_e32 v6, v141
	s_branch .LBB0_2
.LBB0_8:
	v_mov_b32_e32 v139, v2
	v_mov_b32_e32 v141, v6
	;; [unrolled: 1-line block ×4, first 2 shown]
.LBB0_9:
	s_load_dwordx2 s[0:1], s[4:5], 0x28
	v_mul_hi_u32 v3, 0x4ec4ec5, v0
	s_lshl_b64 s[4:5], s[14:15], 3
                                        ; implicit-def: $vgpr136
                                        ; implicit-def: $vgpr153
                                        ; implicit-def: $vgpr155
                                        ; implicit-def: $vgpr157
                                        ; implicit-def: $vgpr159
                                        ; implicit-def: $vgpr161
                                        ; implicit-def: $vgpr142
                                        ; implicit-def: $vgpr144
                                        ; implicit-def: $vgpr146
                                        ; implicit-def: $vgpr148
                                        ; implicit-def: $vgpr150
                                        ; implicit-def: $vgpr152
	s_add_u32 s2, s18, s4
	s_addc_u32 s3, s19, s5
	s_waitcnt lgkmcnt(0)
	v_cmp_gt_u64_e32 vcc_lo, s[0:1], v[140:141]
	v_cmp_le_u64_e64 s0, s[0:1], v[140:141]
	s_and_saveexec_b32 s1, s0
	s_xor_b32 s0, exec_lo, s1
	s_cbranch_execz .LBB0_11
; %bb.10:
	v_mul_u32_u24_e32 v1, 52, v3
                                        ; implicit-def: $vgpr3
	v_sub_nc_u32_e32 v136, v0, v1
                                        ; implicit-def: $vgpr0
                                        ; implicit-def: $vgpr1_vgpr2
	v_add_nc_u32_e32 v153, 52, v136
	v_add_nc_u32_e32 v155, 0x68, v136
	v_add_nc_u32_e32 v157, 0x9c, v136
	v_add_nc_u32_e32 v159, 0xd0, v136
	v_add_nc_u32_e32 v161, 0x104, v136
	v_add_nc_u32_e32 v142, 0x138, v136
	v_add_nc_u32_e32 v144, 0x16c, v136
	v_add_nc_u32_e32 v146, 0x1a0, v136
	v_add_nc_u32_e32 v148, 0x1d4, v136
	v_add_nc_u32_e32 v150, 0x208, v136
	v_add_nc_u32_e32 v152, 0x23c, v136
.LBB0_11:
	s_andn2_saveexec_b32 s1, s0
	s_cbranch_execz .LBB0_13
; %bb.12:
	s_add_u32 s4, s16, s4
	s_addc_u32 s5, s17, s5
	v_lshlrev_b64 v[1:2], 4, v[1:2]
	s_load_dwordx2 s[4:5], s[4:5], 0x0
	s_waitcnt lgkmcnt(0)
	v_mul_lo_u32 v6, s5, v140
	v_mul_lo_u32 v7, s4, v141
	v_mad_u64_u32 v[4:5], null, s4, v140, 0
	v_add3_u32 v5, v5, v7, v6
	v_mul_u32_u24_e32 v6, 52, v3
	v_lshlrev_b64 v[3:4], 4, v[4:5]
	v_sub_nc_u32_e32 v136, v0, v6
	v_lshlrev_b32_e32 v96, 4, v136
	v_add_co_u32 v0, s0, s8, v3
	v_add_co_ci_u32_e64 v3, s0, s9, v4, s0
	v_add_nc_u32_e32 v153, 52, v136
	v_add_co_u32 v0, s0, v0, v1
	v_add_co_ci_u32_e64 v1, s0, v3, v2, s0
	v_or_b32_e32 v2, 0x3400, v96
	v_add_co_u32 v72, s0, v0, v96
	v_add_co_ci_u32_e64 v73, s0, 0, v1, s0
	v_add_co_u32 v8, s0, v0, v2
	v_add_co_ci_u32_e64 v9, s0, 0, v1, s0
	;; [unrolled: 2-line block ×11, first 2 shown]
	s_clause 0x17
	global_load_dwordx4 v[0:3], v[72:73], off
	global_load_dwordx4 v[4:7], v[72:73], off offset:832
	global_load_dwordx4 v[8:11], v[8:9], off
	global_load_dwordx4 v[12:15], v[72:73], off offset:1664
	global_load_dwordx4 v[16:19], v[20:21], off offset:448
	;; [unrolled: 1-line block ×21, first 2 shown]
	v_add_nc_u32_e32 v155, 0x68, v136
	v_add_nc_u32_e32 v157, 0x9c, v136
	;; [unrolled: 1-line block ×11, first 2 shown]
	s_waitcnt vmcnt(23)
	ds_write_b128 v96, v[0:3]
	s_waitcnt vmcnt(22)
	ds_write_b128 v96, v[4:7] offset:832
	s_waitcnt vmcnt(20)
	ds_write_b128 v96, v[12:15] offset:1664
	ds_write_b128 v96, v[8:11] offset:13312
	s_waitcnt vmcnt(19)
	ds_write_b128 v96, v[16:19] offset:2496
	s_waitcnt vmcnt(18)
	;; [unrolled: 2-line block ×13, first 2 shown]
	ds_write_b128 v96, v[68:71] offset:12480
	ds_write_b128 v96, v[44:47] offset:14144
	s_waitcnt vmcnt(5)
	ds_write_b128 v96, v[72:75] offset:14976
	s_waitcnt vmcnt(4)
	;; [unrolled: 2-line block ×6, first 2 shown]
	ds_write_b128 v96, v[92:95] offset:19136
.LBB0_13:
	s_or_b32 exec_lo, exec_lo, s1
	v_lshlrev_b32_e32 v208, 4, v136
	s_load_dwordx2 s[2:3], s[2:3], 0x0
	s_waitcnt lgkmcnt(0)
	s_barrier
	buffer_gl0_inv
	v_add_nc_u32_e32 v207, 0, v208
	v_lshl_add_u32 v96, v153, 5, 0
	v_lshl_add_u32 v97, v155, 5, 0
	;; [unrolled: 1-line block ×4, first 2 shown]
	ds_read_b128 v[0:3], v207 offset:9984
	ds_read_b128 v[4:7], v207
	ds_read_b128 v[8:11], v207 offset:832
	ds_read_b128 v[12:15], v207 offset:10816
	;; [unrolled: 1-line block ×22, first 2 shown]
	v_add_nc_u32_e32 v99, v207, v208
	s_waitcnt lgkmcnt(0)
	s_barrier
	buffer_gl0_inv
	v_lshl_add_u32 v145, v144, 5, 0
	v_lshl_add_u32 v149, v148, 5, 0
	v_add_f64 v[24:25], v[16:17], -v[24:25]
	v_add_f64 v[26:27], v[18:19], -v[26:27]
	v_add_f64 v[28:29], v[20:21], -v[28:29]
	v_add_f64 v[30:31], v[22:23], -v[30:31]
	v_add_f64 v[40:41], v[32:33], -v[40:41]
	v_add_f64 v[42:43], v[34:35], -v[42:43]
	v_add_f64 v[44:45], v[36:37], -v[44:45]
	v_add_f64 v[46:47], v[38:39], -v[46:47]
	v_add_f64 v[0:1], v[4:5], -v[0:1]
	v_add_f64 v[2:3], v[6:7], -v[2:3]
	v_add_f64 v[12:13], v[8:9], -v[12:13]
	v_add_f64 v[14:15], v[10:11], -v[14:15]
	v_add_f64 v[56:57], v[48:49], -v[56:57]
	v_add_f64 v[58:59], v[50:51], -v[58:59]
	v_add_f64 v[76:77], v[68:69], -v[76:77]
	v_add_f64 v[78:79], v[70:71], -v[78:79]
	v_add_f64 v[60:61], v[52:53], -v[60:61]
	v_add_f64 v[62:63], v[54:55], -v[62:63]
	v_add_f64 v[72:73], v[64:65], -v[72:73]
	v_add_f64 v[74:75], v[66:67], -v[74:75]
	v_add_f64 v[88:89], v[80:81], -v[88:89]
	v_add_f64 v[90:91], v[82:83], -v[90:91]
	v_fma_f64 v[16:17], v[16:17], 2.0, -v[24:25]
	v_fma_f64 v[18:19], v[18:19], 2.0, -v[26:27]
	v_fma_f64 v[20:21], v[20:21], 2.0, -v[28:29]
	v_fma_f64 v[22:23], v[22:23], 2.0, -v[30:31]
	v_add_f64 v[92:93], v[84:85], -v[92:93]
	v_add_f64 v[94:95], v[86:87], -v[94:95]
	v_lshl_add_u32 v154, v152, 5, 0
	v_lshl_add_u32 v147, v146, 5, 0
	v_fma_f64 v[4:5], v[4:5], 2.0, -v[0:1]
	v_fma_f64 v[6:7], v[6:7], 2.0, -v[2:3]
	;; [unrolled: 1-line block ×4, first 2 shown]
	ds_write_b128 v99, v[0:3] offset:16
	ds_write_b128 v96, v[12:15] offset:16
	;; [unrolled: 1-line block ×3, first 2 shown]
	v_fma_f64 v[0:1], v[32:33], 2.0, -v[40:41]
	v_fma_f64 v[2:3], v[34:35], 2.0, -v[42:43]
	v_lshl_add_u32 v32, v159, 5, 0
	v_fma_f64 v[12:13], v[52:53], 2.0, -v[60:61]
	v_fma_f64 v[14:15], v[54:55], 2.0, -v[62:63]
	v_lshl_add_u32 v33, v161, 5, 0
	v_lshl_add_u32 v151, v150, 5, 0
	v_fma_f64 v[24:25], v[80:81], 2.0, -v[88:89]
	v_fma_f64 v[26:27], v[82:83], 2.0, -v[90:91]
	v_lshlrev_b32_e32 v162, 1, v136
	v_lshlrev_b32_e32 v164, 1, v153
	;; [unrolled: 1-line block ×6, first 2 shown]
	v_lshl_add_u32 v213, v153, 4, 0
	v_lshl_add_u32 v212, v155, 4, 0
	;; [unrolled: 1-line block ×3, first 2 shown]
	ds_write_b128 v99, v[4:7]
	ds_write_b128 v96, v[8:11]
	v_fma_f64 v[4:5], v[36:37], 2.0, -v[44:45]
	v_fma_f64 v[6:7], v[38:39], 2.0, -v[46:47]
	;; [unrolled: 1-line block ×4, first 2 shown]
	ds_write_b128 v97, v[16:19]
	ds_write_b128 v98, v[20:23]
	v_fma_f64 v[20:21], v[68:69], 2.0, -v[76:77]
	v_fma_f64 v[22:23], v[70:71], 2.0, -v[78:79]
	;; [unrolled: 1-line block ×4, first 2 shown]
	ds_write_b128 v98, v[28:31] offset:16
	v_fma_f64 v[28:29], v[84:85], 2.0, -v[92:93]
	v_fma_f64 v[30:31], v[86:87], 2.0, -v[94:95]
	ds_write_b128 v32, v[40:43] offset:16
	ds_write_b128 v32, v[0:3]
	ds_write_b128 v33, v[44:47] offset:16
	v_sub_nc_u32_e32 v66, v147, v54
	v_sub_nc_u32_e32 v70, v149, v55
	v_lshl_add_u32 v210, v159, 4, 0
	v_lshl_add_u32 v209, v161, 4, 0
	v_cmp_gt_u32_e64 s0, 44, v136
	ds_write_b128 v33, v[4:7]
	ds_write_b128 v143, v[8:11]
	v_and_b32_e32 v4, 1, v136
	ds_write_b128 v143, v[56:59] offset:16
	ds_write_b128 v145, v[12:15]
	ds_write_b128 v145, v[60:63] offset:16
	ds_write_b128 v147, v[16:19]
	ds_write_b128 v147, v[72:75] offset:16
	v_lshlrev_b32_e32 v0, 4, v4
	ds_write_b128 v149, v[20:23]
	ds_write_b128 v149, v[76:79] offset:16
	ds_write_b128 v151, v[24:27]
	ds_write_b128 v151, v[88:91] offset:16
	;; [unrolled: 2-line block ×3, first 2 shown]
	s_waitcnt lgkmcnt(0)
	s_barrier
	buffer_gl0_inv
	global_load_dwordx4 v[0:3], v0, s[12:13]
	v_lshlrev_b32_e32 v5, 1, v155
	v_lshlrev_b32_e32 v6, 1, v157
	;; [unrolled: 1-line block ×12, first 2 shown]
	v_and_or_b32 v15, 0x7c, v162, v4
	v_and_or_b32 v16, 0xfc, v164, v4
	;; [unrolled: 1-line block ×12, first 2 shown]
	v_sub_nc_u32_e32 v58, v143, v52
	v_sub_nc_u32_e32 v62, v145, v53
	;; [unrolled: 1-line block ×4, first 2 shown]
	v_lshl_add_u32 v137, v15, 4, 0
	v_lshl_add_u32 v156, v16, 4, 0
	;; [unrolled: 1-line block ×12, first 2 shown]
	ds_read_b128 v[4:7], v207 offset:9984
	ds_read_b128 v[8:11], v207 offset:10816
	;; [unrolled: 1-line block ×11, first 2 shown]
	ds_read_b128 v[48:51], v207
	ds_read_b128 v[58:61], v58
	;; [unrolled: 1-line block ×7, first 2 shown]
	ds_read_b128 v[82:85], v207 offset:19136
	ds_read_b128 v[86:89], v213
	ds_read_b128 v[90:93], v212
	;; [unrolled: 1-line block ×5, first 2 shown]
	s_waitcnt vmcnt(0) lgkmcnt(0)
	s_barrier
	buffer_gl0_inv
	v_mul_f64 v[106:107], v[6:7], v[2:3]
	v_mul_f64 v[108:109], v[4:5], v[2:3]
	v_mul_f64 v[110:111], v[10:11], v[2:3]
	v_mul_f64 v[112:113], v[8:9], v[2:3]
	v_mul_f64 v[114:115], v[14:15], v[2:3]
	v_mul_f64 v[116:117], v[12:13], v[2:3]
	v_mul_f64 v[118:119], v[18:19], v[2:3]
	v_mul_f64 v[120:121], v[16:17], v[2:3]
	v_mul_f64 v[122:123], v[22:23], v[2:3]
	v_mul_f64 v[124:125], v[20:21], v[2:3]
	v_mul_f64 v[126:127], v[26:27], v[2:3]
	v_mul_f64 v[128:129], v[24:25], v[2:3]
	v_mul_f64 v[130:131], v[30:31], v[2:3]
	v_mul_f64 v[132:133], v[28:29], v[2:3]
	v_mul_f64 v[134:135], v[34:35], v[2:3]
	v_mul_f64 v[165:166], v[32:33], v[2:3]
	v_mul_f64 v[167:168], v[38:39], v[2:3]
	v_mul_f64 v[169:170], v[36:37], v[2:3]
	v_mul_f64 v[171:172], v[42:43], v[2:3]
	v_mul_f64 v[173:174], v[40:41], v[2:3]
	v_mul_f64 v[175:176], v[46:47], v[2:3]
	v_mul_f64 v[177:178], v[44:45], v[2:3]
	v_mul_f64 v[179:180], v[84:85], v[2:3]
	v_mul_f64 v[2:3], v[82:83], v[2:3]
	v_fma_f64 v[4:5], v[4:5], v[0:1], v[106:107]
	v_fma_f64 v[6:7], v[6:7], v[0:1], -v[108:109]
	v_fma_f64 v[8:9], v[8:9], v[0:1], v[110:111]
	v_fma_f64 v[10:11], v[10:11], v[0:1], -v[112:113]
	;; [unrolled: 2-line block ×12, first 2 shown]
	v_add_f64 v[12:13], v[48:49], -v[4:5]
	v_add_f64 v[14:15], v[50:51], -v[6:7]
	;; [unrolled: 1-line block ×24, first 2 shown]
	v_fma_f64 v[48:49], v[48:49], 2.0, -v[12:13]
	v_fma_f64 v[50:51], v[50:51], 2.0, -v[14:15]
	;; [unrolled: 1-line block ×14, first 2 shown]
	ds_write_b128 v137, v[12:15] offset:32
	v_fma_f64 v[12:13], v[62:63], 2.0, -v[4:5]
	v_fma_f64 v[14:15], v[64:65], 2.0, -v[6:7]
	;; [unrolled: 1-line block ×10, first 2 shown]
	ds_write_b128 v137, v[48:51]
	ds_write_b128 v156, v[86:89]
	ds_write_b128 v156, v[44:47] offset:32
	ds_write_b128 v158, v[90:93]
	ds_write_b128 v158, v[82:85] offset:32
	;; [unrolled: 2-line block ×11, first 2 shown]
	s_waitcnt lgkmcnt(0)
	s_barrier
	buffer_gl0_inv
	ds_read_b128 v[104:107], v207
	ds_read_b128 v[84:87], v207 offset:1536
	ds_read_b128 v[80:83], v207 offset:3072
	;; [unrolled: 1-line block ×12, first 2 shown]
                                        ; implicit-def: $vgpr50_vgpr51
                                        ; implicit-def: $vgpr46_vgpr47
	s_and_saveexec_b32 s1, s0
	s_cbranch_execz .LBB0_15
; %bb.14:
	ds_read_b128 v[0:3], v213
	ds_read_b128 v[12:15], v207 offset:2368
	ds_read_b128 v[4:7], v207 offset:3904
	;; [unrolled: 1-line block ×12, first 2 shown]
.LBB0_15:
	s_or_b32 exec_lo, exec_lo, s1
	v_and_b32_e32 v137, 3, v136
	v_sub_nc_u32_e32 v215, 0, v52
	v_sub_nc_u32_e32 v163, 0, v53
	;; [unrolled: 1-line block ×4, first 2 shown]
	v_mul_u32_u24_e32 v52, 12, v137
	v_sub_nc_u32_e32 v160, 0, v56
	v_sub_nc_u32_e32 v156, 0, v57
	s_mov_b32 s8, 0x4267c47c
	s_mov_b32 s18, 0x42a4c3d2
	v_lshlrev_b32_e32 v171, 4, v52
	s_mov_b32 s22, 0x66966769
	s_mov_b32 s28, 0x2ef20147
	;; [unrolled: 1-line block ×4, first 2 shown]
	s_clause 0x3
	global_load_dwordx4 v[60:63], v171, s[12:13] offset:80
	global_load_dwordx4 v[52:55], v171, s[12:13] offset:64
	;; [unrolled: 1-line block ×4, first 2 shown]
	s_mov_b32 s9, 0xbfddbe06
	s_mov_b32 s19, 0xbfea55e2
	s_mov_b32 s23, 0xbfefc445
	s_mov_b32 s29, 0xbfedeba7
	s_mov_b32 s35, 0xbfe5384d
	s_mov_b32 s39, 0xbfcea1e5
	s_mov_b32 s4, 0xe00740e9
	s_mov_b32 s16, 0x1ea71119
	s_mov_b32 s14, 0xebaa3ed8
	s_mov_b32 s24, 0xb2365da1
	s_mov_b32 s30, 0xd0032e0c
	s_mov_b32 s40, 0x93053d00
	s_mov_b32 s5, 0x3fec55a7
	s_mov_b32 s17, 0x3fe22d96
	s_mov_b32 s15, 0x3fbedb7d
	s_mov_b32 s25, 0xbfd6b1d8
	s_mov_b32 s31, 0xbfe7f3cc
	s_mov_b32 s41, 0xbfef11f4
	s_mov_b32 s7, 0x3fddbe06
	s_mov_b32 s6, s8
	s_mov_b32 s27, 0x3fea55e2
	s_mov_b32 s26, s18
	s_mov_b32 s21, 0x3fefc445
	s_mov_b32 s20, s22
	s_mov_b32 s43, 0x3fedeba7
	s_mov_b32 s42, s28
	s_mov_b32 s37, 0x3fe5384d
	s_mov_b32 s36, s34
	s_mov_b32 s45, 0x3fcea1e5
	s_mov_b32 s44, s38
	s_waitcnt vmcnt(0) lgkmcnt(11)
	v_mul_f64 v[120:121], v[86:87], v[66:67]
	v_fma_f64 v[179:180], v[84:85], v[64:65], v[120:121]
	v_mul_f64 v[84:85], v[84:85], v[66:67]
	v_fma_f64 v[181:182], v[86:87], v[64:65], -v[84:85]
	s_waitcnt lgkmcnt(10)
	v_mul_f64 v[84:85], v[82:83], v[58:59]
	v_fma_f64 v[177:178], v[80:81], v[56:57], v[84:85]
	v_mul_f64 v[80:81], v[80:81], v[58:59]
	v_fma_f64 v[175:176], v[82:83], v[56:57], -v[80:81]
	s_waitcnt lgkmcnt(9)
	;; [unrolled: 5-line block ×3, first 2 shown]
	v_mul_f64 v[76:77], v[74:75], v[62:63]
	v_fma_f64 v[167:168], v[72:73], v[60:61], v[76:77]
	v_mul_f64 v[72:73], v[72:73], v[62:63]
	v_fma_f64 v[165:166], v[74:75], v[60:61], -v[72:73]
	s_clause 0x3
	global_load_dwordx4 v[72:75], v171, s[12:13] offset:144
	global_load_dwordx4 v[76:79], v171, s[12:13] offset:128
	;; [unrolled: 1-line block ×4, first 2 shown]
	s_waitcnt vmcnt(0) lgkmcnt(7)
	v_mul_f64 v[120:121], v[98:99], v[86:87]
	v_fma_f64 v[132:133], v[96:97], v[84:85], v[120:121]
	v_mul_f64 v[96:97], v[96:97], v[86:87]
	v_fma_f64 v[128:129], v[98:99], v[84:85], -v[96:97]
	s_waitcnt lgkmcnt(6)
	v_mul_f64 v[96:97], v[94:95], v[82:83]
	v_fma_f64 v[124:125], v[92:93], v[80:81], v[96:97]
	v_mul_f64 v[92:93], v[92:93], v[82:83]
	v_fma_f64 v[120:121], v[94:95], v[80:81], -v[92:93]
	s_waitcnt lgkmcnt(5)
	;; [unrolled: 5-line block ×3, first 2 shown]
	v_mul_f64 v[88:89], v[70:71], v[74:75]
	v_fma_f64 v[134:135], v[68:69], v[72:73], v[88:89]
	v_mul_f64 v[68:69], v[68:69], v[74:75]
	v_fma_f64 v[130:131], v[70:71], v[72:73], -v[68:69]
	s_clause 0x3
	global_load_dwordx4 v[92:95], v171, s[12:13] offset:208
	global_load_dwordx4 v[88:91], v171, s[12:13] offset:192
	global_load_dwordx4 v[68:71], v171, s[12:13] offset:176
	global_load_dwordx4 v[96:99], v171, s[12:13] offset:160
	s_waitcnt vmcnt(0) lgkmcnt(0)
	s_barrier
	buffer_gl0_inv
	v_mul_f64 v[171:172], v[118:119], v[98:99]
	v_fma_f64 v[171:172], v[116:117], v[96:97], v[171:172]
	v_mul_f64 v[116:117], v[116:117], v[98:99]
	v_fma_f64 v[116:117], v[118:119], v[96:97], -v[116:117]
	v_mul_f64 v[118:119], v[114:115], v[70:71]
	v_fma_f64 v[118:119], v[112:113], v[68:69], v[118:119]
	v_mul_f64 v[112:113], v[112:113], v[70:71]
	v_fma_f64 v[112:113], v[114:115], v[68:69], -v[112:113]
	v_mul_f64 v[114:115], v[110:111], v[90:91]
	v_fma_f64 v[114:115], v[108:109], v[88:89], v[114:115]
	v_mul_f64 v[108:109], v[108:109], v[90:91]
	v_fma_f64 v[108:109], v[110:111], v[88:89], -v[108:109]
	v_mul_f64 v[110:111], v[102:103], v[94:95]
	v_fma_f64 v[110:111], v[100:101], v[92:93], v[110:111]
	v_mul_f64 v[100:101], v[100:101], v[94:95]
	v_add_f64 v[187:188], v[179:180], v[110:111]
	v_fma_f64 v[183:184], v[102:103], v[92:93], -v[100:101]
	v_add_f64 v[100:101], v[104:105], v[179:180]
	v_add_f64 v[102:103], v[106:107], v[181:182]
	v_add_f64 v[216:217], v[181:182], -v[183:184]
	v_add_f64 v[100:101], v[100:101], v[177:178]
	v_add_f64 v[102:103], v[102:103], v[175:176]
	;; [unrolled: 1-line block ×3, first 2 shown]
	v_mul_f64 v[181:182], v[216:217], s[8:9]
	v_add_f64 v[100:101], v[100:101], v[173:174]
	v_add_f64 v[102:103], v[102:103], v[169:170]
	v_mul_f64 v[193:194], v[216:217], s[18:19]
	v_mul_f64 v[203:204], v[216:217], s[22:23]
	;; [unrolled: 1-line block ×9, first 2 shown]
	v_add_f64 v[100:101], v[100:101], v[167:168]
	v_add_f64 v[102:103], v[102:103], v[165:166]
	v_fma_f64 v[189:190], v[187:188], s[16:17], v[193:194]
	v_fma_f64 v[193:194], v[187:188], s[16:17], -v[193:194]
	v_fma_f64 v[199:200], v[187:188], s[14:15], v[203:204]
	v_fma_f64 v[203:204], v[187:188], s[14:15], -v[203:204]
	;; [unrolled: 2-line block ×4, first 2 shown]
	v_fma_f64 v[234:235], v[187:188], s[40:41], v[216:217]
	v_add_f64 v[100:101], v[100:101], v[132:133]
	v_add_f64 v[102:103], v[102:103], v[128:129]
	;; [unrolled: 1-line block ×25, first 2 shown]
	v_add_f64 v[110:111], v[179:180], -v[110:111]
	v_fma_f64 v[179:180], v[187:188], s[4:5], v[181:182]
	v_mul_f64 v[183:184], v[197:198], s[4:5]
	v_fma_f64 v[181:182], v[187:188], s[4:5], -v[181:182]
	v_mul_f64 v[197:198], v[197:198], s[40:41]
	v_fma_f64 v[187:188], v[187:188], s[40:41], -v[216:217]
	v_fma_f64 v[191:192], v[110:111], s[26:27], v[195:196]
	v_add_f64 v[185:186], v[104:105], v[179:180]
	v_fma_f64 v[179:180], v[110:111], s[6:7], v[183:184]
	v_add_f64 v[181:182], v[104:105], v[181:182]
	v_fma_f64 v[183:184], v[110:111], s[8:9], v[183:184]
	v_fma_f64 v[195:196], v[110:111], s[18:19], v[195:196]
	;; [unrolled: 1-line block ×9, first 2 shown]
	v_add_f64 v[104:105], v[104:105], v[187:188]
	v_fma_f64 v[110:111], v[110:111], s[38:39], v[197:198]
	v_add_f64 v[187:188], v[175:176], v[108:109]
	v_add_f64 v[108:109], v[175:176], -v[108:109]
	v_add_f64 v[191:192], v[106:107], v[191:192]
	v_add_f64 v[179:180], v[106:107], v[179:180]
	;; [unrolled: 1-line block ×13, first 2 shown]
	v_mul_f64 v[175:176], v[108:109], s[18:19]
	v_add_f64 v[114:115], v[177:178], -v[114:115]
	v_fma_f64 v[177:178], v[110:111], s[16:17], v[175:176]
	v_fma_f64 v[175:176], v[110:111], s[16:17], -v[175:176]
	v_add_f64 v[177:178], v[177:178], v[185:186]
	v_mul_f64 v[185:186], v[187:188], s[16:17]
	v_add_f64 v[175:176], v[175:176], v[181:182]
	v_fma_f64 v[181:182], v[114:115], s[18:19], v[185:186]
	v_fma_f64 v[197:198], v[114:115], s[26:27], v[185:186]
	v_add_f64 v[181:182], v[181:182], v[183:184]
	v_mul_f64 v[183:184], v[108:109], s[28:29]
	v_add_f64 v[179:180], v[197:198], v[179:180]
	v_fma_f64 v[185:186], v[110:111], s[24:25], v[183:184]
	v_fma_f64 v[183:184], v[110:111], s[24:25], -v[183:184]
	v_add_f64 v[185:186], v[185:186], v[189:190]
	v_mul_f64 v[189:190], v[187:188], s[24:25]
	v_add_f64 v[183:184], v[183:184], v[193:194]
	v_mul_f64 v[193:194], v[108:109], s[38:39]
	v_fma_f64 v[197:198], v[114:115], s[42:43], v[189:190]
	v_fma_f64 v[189:190], v[114:115], s[28:29], v[189:190]
	v_add_f64 v[191:192], v[197:198], v[191:192]
	v_add_f64 v[189:190], v[189:190], v[195:196]
	v_fma_f64 v[195:196], v[110:111], s[40:41], v[193:194]
	v_mul_f64 v[197:198], v[187:188], s[40:41]
	v_fma_f64 v[193:194], v[110:111], s[40:41], -v[193:194]
	v_add_f64 v[195:196], v[195:196], v[199:200]
	v_fma_f64 v[199:200], v[114:115], s[44:45], v[197:198]
	v_add_f64 v[193:194], v[193:194], v[203:204]
	v_fma_f64 v[197:198], v[114:115], s[38:39], v[197:198]
	v_add_f64 v[199:200], v[199:200], v[201:202]
	v_mul_f64 v[201:202], v[108:109], s[36:37]
	v_add_f64 v[197:198], v[197:198], v[205:206]
	v_mul_f64 v[205:206], v[187:188], s[30:31]
	v_fma_f64 v[203:204], v[110:111], s[30:31], v[201:202]
	v_fma_f64 v[201:202], v[110:111], s[30:31], -v[201:202]
	v_fma_f64 v[216:217], v[114:115], s[34:35], v[205:206]
	v_fma_f64 v[205:206], v[114:115], s[36:37], v[205:206]
	v_add_f64 v[203:204], v[203:204], v[220:221]
	v_add_f64 v[201:202], v[201:202], v[218:219]
	v_mul_f64 v[218:219], v[108:109], s[20:21]
	v_mul_f64 v[108:109], v[108:109], s[6:7]
	v_add_f64 v[205:206], v[205:206], v[222:223]
	v_mul_f64 v[222:223], v[187:188], s[14:15]
	v_mul_f64 v[187:188], v[187:188], s[4:5]
	v_add_f64 v[216:217], v[216:217], v[224:225]
	v_fma_f64 v[220:221], v[110:111], s[14:15], v[218:219]
	v_fma_f64 v[218:219], v[110:111], s[14:15], -v[218:219]
	v_fma_f64 v[224:225], v[114:115], s[22:23], v[222:223]
	v_fma_f64 v[222:223], v[114:115], s[20:21], v[222:223]
	v_add_f64 v[220:221], v[220:221], v[228:229]
	v_add_f64 v[218:219], v[218:219], v[226:227]
	v_fma_f64 v[226:227], v[110:111], s[4:5], v[108:109]
	v_fma_f64 v[108:109], v[110:111], s[4:5], -v[108:109]
	v_add_f64 v[110:111], v[169:170], v[112:113]
	v_add_f64 v[112:113], v[169:170], -v[112:113]
	v_fma_f64 v[228:229], v[114:115], s[8:9], v[187:188]
	v_add_f64 v[222:223], v[222:223], v[230:231]
	v_add_f64 v[224:225], v[224:225], v[232:233]
	;; [unrolled: 1-line block ×4, first 2 shown]
	v_fma_f64 v[108:109], v[114:115], s[6:7], v[187:188]
	v_add_f64 v[114:115], v[173:174], -v[118:119]
	v_add_f64 v[228:229], v[228:229], v[236:237]
	v_add_f64 v[106:107], v[108:109], v[106:107]
	;; [unrolled: 1-line block ×3, first 2 shown]
	v_mul_f64 v[118:119], v[112:113], s[22:23]
	v_mul_f64 v[173:174], v[110:111], s[14:15]
	v_fma_f64 v[169:170], v[108:109], s[14:15], v[118:119]
	v_fma_f64 v[118:119], v[108:109], s[14:15], -v[118:119]
	v_add_f64 v[169:170], v[169:170], v[177:178]
	v_fma_f64 v[177:178], v[114:115], s[20:21], v[173:174]
	v_add_f64 v[118:119], v[118:119], v[175:176]
	v_mul_f64 v[175:176], v[112:113], s[38:39]
	v_fma_f64 v[173:174], v[114:115], s[22:23], v[173:174]
	v_add_f64 v[177:178], v[177:178], v[179:180]
	v_fma_f64 v[179:180], v[108:109], s[40:41], v[175:176]
	v_fma_f64 v[175:176], v[108:109], s[40:41], -v[175:176]
	v_add_f64 v[173:174], v[173:174], v[181:182]
	v_mul_f64 v[181:182], v[110:111], s[40:41]
	v_add_f64 v[179:180], v[179:180], v[185:186]
	v_add_f64 v[175:176], v[175:176], v[183:184]
	v_mul_f64 v[183:184], v[112:113], s[42:43]
	v_fma_f64 v[185:186], v[114:115], s[44:45], v[181:182]
	v_fma_f64 v[181:182], v[114:115], s[38:39], v[181:182]
	;; [unrolled: 1-line block ×3, first 2 shown]
	v_fma_f64 v[183:184], v[108:109], s[24:25], -v[183:184]
	v_add_f64 v[181:182], v[181:182], v[189:190]
	v_mul_f64 v[189:190], v[110:111], s[24:25]
	v_add_f64 v[185:186], v[185:186], v[191:192]
	v_add_f64 v[187:188], v[187:188], v[195:196]
	v_add_f64 v[183:184], v[183:184], v[193:194]
	v_mul_f64 v[193:194], v[112:113], s[6:7]
	v_fma_f64 v[191:192], v[114:115], s[28:29], v[189:190]
	v_fma_f64 v[189:190], v[114:115], s[42:43], v[189:190]
	;; [unrolled: 1-line block ×3, first 2 shown]
	v_fma_f64 v[193:194], v[108:109], s[4:5], -v[193:194]
	v_add_f64 v[189:190], v[189:190], v[197:198]
	v_mul_f64 v[197:198], v[110:111], s[4:5]
	v_add_f64 v[191:192], v[191:192], v[199:200]
	v_add_f64 v[195:196], v[195:196], v[203:204]
	;; [unrolled: 1-line block ×3, first 2 shown]
	v_mul_f64 v[201:202], v[112:113], s[18:19]
	v_fma_f64 v[199:200], v[114:115], s[8:9], v[197:198]
	v_fma_f64 v[197:198], v[114:115], s[6:7], v[197:198]
	v_mul_f64 v[112:113], v[112:113], s[34:35]
	v_fma_f64 v[203:204], v[108:109], s[16:17], v[201:202]
	v_fma_f64 v[201:202], v[108:109], s[16:17], -v[201:202]
	v_add_f64 v[197:198], v[197:198], v[205:206]
	v_mul_f64 v[205:206], v[110:111], s[16:17]
	v_mul_f64 v[110:111], v[110:111], s[30:31]
	v_add_f64 v[199:200], v[199:200], v[216:217]
	v_add_f64 v[203:204], v[203:204], v[220:221]
	;; [unrolled: 1-line block ×3, first 2 shown]
	v_fma_f64 v[218:219], v[108:109], s[30:31], v[112:113]
	v_fma_f64 v[108:109], v[108:109], s[30:31], -v[112:113]
	v_fma_f64 v[216:217], v[114:115], s[26:27], v[205:206]
	v_fma_f64 v[205:206], v[114:115], s[18:19], v[205:206]
	;; [unrolled: 1-line block ×3, first 2 shown]
	v_add_f64 v[112:113], v[167:168], -v[171:172]
	v_add_f64 v[218:219], v[218:219], v[226:227]
	v_add_f64 v[104:105], v[108:109], v[104:105]
	v_fma_f64 v[108:109], v[114:115], s[34:35], v[110:111]
	v_add_f64 v[114:115], v[165:166], -v[116:117]
	v_add_f64 v[110:111], v[165:166], v[116:117]
	v_add_f64 v[205:206], v[205:206], v[222:223]
	;; [unrolled: 1-line block ×6, first 2 shown]
	v_mul_f64 v[116:117], v[114:115], s[28:29]
	v_mul_f64 v[167:168], v[110:111], s[24:25]
	v_fma_f64 v[165:166], v[108:109], s[24:25], v[116:117]
	v_fma_f64 v[116:117], v[108:109], s[24:25], -v[116:117]
	v_add_f64 v[165:166], v[165:166], v[169:170]
	v_add_f64 v[116:117], v[116:117], v[118:119]
	v_fma_f64 v[118:119], v[112:113], s[28:29], v[167:168]
	v_fma_f64 v[169:170], v[112:113], s[42:43], v[167:168]
	v_mul_f64 v[167:168], v[114:115], s[36:37]
	v_add_f64 v[118:119], v[118:119], v[173:174]
	v_mul_f64 v[173:174], v[110:111], s[30:31]
	v_add_f64 v[169:170], v[169:170], v[177:178]
	v_fma_f64 v[171:172], v[108:109], s[30:31], v[167:168]
	v_fma_f64 v[167:168], v[108:109], s[30:31], -v[167:168]
	v_fma_f64 v[177:178], v[112:113], s[34:35], v[173:174]
	v_fma_f64 v[173:174], v[112:113], s[36:37], v[173:174]
	v_add_f64 v[171:172], v[171:172], v[179:180]
	v_add_f64 v[167:168], v[167:168], v[175:176]
	v_mul_f64 v[175:176], v[114:115], s[6:7]
	v_add_f64 v[177:178], v[177:178], v[185:186]
	v_add_f64 v[173:174], v[173:174], v[181:182]
	v_mul_f64 v[181:182], v[110:111], s[4:5]
	v_fma_f64 v[179:180], v[108:109], s[4:5], v[175:176]
	v_fma_f64 v[175:176], v[108:109], s[4:5], -v[175:176]
	v_fma_f64 v[185:186], v[112:113], s[8:9], v[181:182]
	v_fma_f64 v[181:182], v[112:113], s[6:7], v[181:182]
	v_add_f64 v[179:180], v[179:180], v[187:188]
	v_add_f64 v[175:176], v[175:176], v[183:184]
	v_mul_f64 v[183:184], v[114:115], s[22:23]
	v_add_f64 v[185:186], v[185:186], v[191:192]
	v_add_f64 v[181:182], v[181:182], v[189:190]
	v_mul_f64 v[189:190], v[110:111], s[14:15]
	v_fma_f64 v[187:188], v[108:109], s[14:15], v[183:184]
	v_fma_f64 v[183:184], v[108:109], s[14:15], -v[183:184]
	v_fma_f64 v[191:192], v[112:113], s[20:21], v[189:190]
	v_fma_f64 v[189:190], v[112:113], s[22:23], v[189:190]
	v_add_f64 v[187:188], v[187:188], v[195:196]
	v_add_f64 v[183:184], v[183:184], v[193:194]
	;; [unrolled: 1-line block ×4, first 2 shown]
	v_mul_f64 v[189:190], v[114:115], s[44:45]
	v_mul_f64 v[114:115], v[114:115], s[26:27]
	v_fma_f64 v[191:192], v[108:109], s[40:41], v[189:190]
	v_fma_f64 v[189:190], v[108:109], s[40:41], -v[189:190]
	v_add_f64 v[197:198], v[191:192], v[203:204]
	v_mul_f64 v[191:192], v[110:111], s[40:41]
	v_add_f64 v[201:202], v[189:190], v[201:202]
	v_mul_f64 v[110:111], v[110:111], s[16:17]
	v_fma_f64 v[189:190], v[112:113], s[44:45], v[191:192]
	v_fma_f64 v[199:200], v[112:113], s[38:39], v[191:192]
	v_add_f64 v[203:204], v[189:190], v[205:206]
	v_fma_f64 v[189:190], v[108:109], s[16:17], v[114:115]
	v_fma_f64 v[108:109], v[108:109], s[16:17], -v[114:115]
	v_add_f64 v[114:115], v[128:129], -v[130:131]
	v_add_f64 v[199:200], v[199:200], v[216:217]
	v_add_f64 v[205:206], v[189:190], v[218:219]
	;; [unrolled: 1-line block ×3, first 2 shown]
	v_fma_f64 v[108:109], v[112:113], s[26:27], v[110:111]
	v_fma_f64 v[189:190], v[112:113], s[18:19], v[110:111]
	v_add_f64 v[110:111], v[128:129], v[130:131]
	v_mul_f64 v[128:129], v[114:115], s[34:35]
	v_add_f64 v[112:113], v[132:133], -v[134:135]
	v_add_f64 v[106:107], v[108:109], v[106:107]
	v_add_f64 v[108:109], v[132:133], v[134:135]
	;; [unrolled: 1-line block ×3, first 2 shown]
	v_mul_f64 v[134:135], v[110:111], s[40:41]
	v_fma_f64 v[130:131], v[108:109], s[30:31], v[128:129]
	v_fma_f64 v[128:129], v[108:109], s[30:31], -v[128:129]
	v_add_f64 v[218:219], v[130:131], v[165:166]
	v_mul_f64 v[130:131], v[110:111], s[30:31]
	v_add_f64 v[116:117], v[128:129], v[116:117]
	v_mul_f64 v[165:166], v[114:115], s[6:7]
	v_fma_f64 v[128:129], v[112:113], s[34:35], v[130:131]
	v_fma_f64 v[132:133], v[112:113], s[36:37], v[130:131]
	v_add_f64 v[118:119], v[128:129], v[118:119]
	v_mul_f64 v[128:129], v[114:115], s[20:21]
	v_add_f64 v[220:221], v[132:133], v[169:170]
	v_fma_f64 v[130:131], v[108:109], s[14:15], v[128:129]
	v_fma_f64 v[128:129], v[108:109], s[14:15], -v[128:129]
	v_add_f64 v[222:223], v[130:131], v[171:172]
	v_mul_f64 v[130:131], v[110:111], s[14:15]
	v_add_f64 v[226:227], v[128:129], v[167:168]
	v_fma_f64 v[167:168], v[108:109], s[4:5], v[165:166]
	v_fma_f64 v[165:166], v[108:109], s[4:5], -v[165:166]
	v_add_f64 v[171:172], v[124:125], v[126:127]
	v_fma_f64 v[128:129], v[112:113], s[20:21], v[130:131]
	v_fma_f64 v[132:133], v[112:113], s[22:23], v[130:131]
	v_add_f64 v[228:229], v[128:129], v[173:174]
	v_mul_f64 v[128:129], v[114:115], s[18:19]
	v_add_f64 v[224:225], v[132:133], v[177:178]
	v_add_f64 v[177:178], v[120:121], v[122:123]
	v_fma_f64 v[130:131], v[108:109], s[16:17], v[128:129]
	v_fma_f64 v[128:129], v[108:109], s[16:17], -v[128:129]
	v_add_f64 v[230:231], v[130:131], v[179:180]
	v_mul_f64 v[130:131], v[110:111], s[16:17]
	v_add_f64 v[191:192], v[128:129], v[175:176]
	v_fma_f64 v[132:133], v[112:113], s[26:27], v[130:131]
	v_fma_f64 v[128:129], v[112:113], s[18:19], v[130:131]
	;; [unrolled: 1-line block ×4, first 2 shown]
	v_add_f64 v[232:233], v[132:133], v[185:186]
	v_mul_f64 v[132:133], v[114:115], s[44:45]
	v_add_f64 v[189:190], v[128:129], v[181:182]
	v_add_f64 v[181:182], v[165:166], v[201:202]
	;; [unrolled: 1-line block ×4, first 2 shown]
	v_mul_f64 v[114:115], v[114:115], s[28:29]
	v_fma_f64 v[128:129], v[108:109], s[40:41], v[132:133]
	v_fma_f64 v[132:133], v[108:109], s[40:41], -v[132:133]
	v_add_f64 v[128:129], v[128:129], v[187:188]
	v_add_f64 v[187:188], v[167:168], v[197:198]
	v_mul_f64 v[167:168], v[110:111], s[4:5]
	v_add_f64 v[132:133], v[132:133], v[183:184]
	v_add_f64 v[183:184], v[120:121], -v[122:123]
	v_mul_f64 v[110:111], v[110:111], s[24:25]
	v_fma_f64 v[169:170], v[112:113], s[8:9], v[167:168]
	v_fma_f64 v[165:166], v[112:113], s[6:7], v[167:168]
	v_add_f64 v[167:168], v[124:125], -v[126:127]
	v_mul_f64 v[126:127], v[177:178], s[30:31]
	v_mul_f64 v[124:125], v[183:184], s[34:35]
	v_add_f64 v[185:186], v[169:170], v[199:200]
	v_add_f64 v[179:180], v[165:166], v[203:204]
	v_fma_f64 v[165:166], v[108:109], s[24:25], v[114:115]
	v_fma_f64 v[122:123], v[167:168], s[36:37], v[126:127]
	;; [unrolled: 1-line block ×4, first 2 shown]
	v_fma_f64 v[124:125], v[171:172], s[30:31], -v[124:125]
	v_fma_f64 v[108:109], v[108:109], s[24:25], -v[114:115]
	v_add_f64 v[175:176], v[165:166], v[205:206]
	v_fma_f64 v[165:166], v[112:113], s[42:43], v[110:111]
	v_add_f64 v[126:127], v[126:127], v[189:190]
	v_mul_f64 v[189:190], v[183:184], s[26:27]
	v_add_f64 v[124:125], v[124:125], v[191:192]
	v_add_f64 v[169:170], v[108:109], v[104:105]
	v_fma_f64 v[104:105], v[112:113], s[28:29], v[110:111]
	v_add_f64 v[120:121], v[120:121], v[230:231]
	v_add_f64 v[122:123], v[122:123], v[232:233]
	;; [unrolled: 1-line block ×3, first 2 shown]
	v_fma_f64 v[191:192], v[171:172], s[16:17], v[189:190]
	v_fma_f64 v[189:190], v[171:172], s[16:17], -v[189:190]
	v_add_f64 v[165:166], v[104:105], v[106:107]
	v_mul_f64 v[104:105], v[183:184], s[38:39]
	v_add_f64 v[128:129], v[191:192], v[128:129]
	v_mul_f64 v[191:192], v[177:178], s[16:17]
	v_add_f64 v[132:133], v[189:190], v[132:133]
	v_fma_f64 v[106:107], v[171:172], s[40:41], v[104:105]
	v_fma_f64 v[104:105], v[171:172], s[40:41], -v[104:105]
	v_fma_f64 v[193:194], v[167:168], s[18:19], v[191:192]
	v_fma_f64 v[189:190], v[167:168], s[26:27], v[191:192]
	v_mul_f64 v[191:192], v[183:184], s[28:29]
	v_add_f64 v[108:109], v[106:107], v[218:219]
	v_mul_f64 v[106:107], v[177:178], s[40:41]
	v_add_f64 v[104:105], v[104:105], v[116:117]
	;; [unrolled: 2-line block ×3, first 2 shown]
	v_add_f64 v[134:135], v[189:190], v[134:135]
	v_fma_f64 v[189:190], v[171:172], s[24:25], v[191:192]
	v_mul_f64 v[193:194], v[177:178], s[24:25]
	v_fma_f64 v[110:111], v[167:168], s[44:45], v[106:107]
	v_fma_f64 v[106:107], v[167:168], s[38:39], v[106:107]
	;; [unrolled: 1-line block ×3, first 2 shown]
	v_fma_f64 v[116:117], v[171:172], s[4:5], -v[116:117]
	v_add_f64 v[187:188], v[189:190], v[187:188]
	v_fma_f64 v[189:190], v[167:168], s[42:43], v[193:194]
	v_add_f64 v[110:111], v[110:111], v[220:221]
	v_add_f64 v[106:107], v[106:107], v[118:119]
	v_mul_f64 v[118:119], v[177:178], s[4:5]
	v_add_f64 v[112:113], v[112:113], v[222:223]
	v_add_f64 v[116:117], v[116:117], v[226:227]
	;; [unrolled: 1-line block ×3, first 2 shown]
	v_fma_f64 v[185:186], v[171:172], s[24:25], -v[191:192]
	v_fma_f64 v[114:115], v[167:168], s[8:9], v[118:119]
	v_fma_f64 v[118:119], v[167:168], s[6:7], v[118:119]
	v_add_f64 v[191:192], v[185:186], v[181:182]
	v_fma_f64 v[181:182], v[167:168], s[28:29], v[193:194]
	v_add_f64 v[114:115], v[114:115], v[224:225]
	v_add_f64 v[118:119], v[118:119], v[228:229]
	;; [unrolled: 1-line block ×3, first 2 shown]
	v_mul_f64 v[179:180], v[183:184], s[20:21]
	v_fma_f64 v[181:182], v[171:172], s[14:15], v[179:180]
	v_fma_f64 v[171:172], v[171:172], s[14:15], -v[179:180]
	v_add_f64 v[175:176], v[181:182], v[175:176]
	v_mul_f64 v[181:182], v[177:178], s[14:15]
	v_add_f64 v[169:170], v[171:172], v[169:170]
	v_fma_f64 v[177:178], v[167:168], s[22:23], v[181:182]
	v_fma_f64 v[167:168], v[167:168], s[20:21], v[181:182]
	v_add_f64 v[177:178], v[177:178], v[173:174]
	v_add_f64 v[171:172], v[167:168], v[165:166]
	v_lshrrev_b32_e32 v165, 2, v136
	v_mul_u32_u24_e32 v165, 52, v165
	v_or_b32_e32 v165, v165, v137
	v_lshl_add_u32 v165, v165, 4, 0
	ds_write_b128 v165, v[100:103]
	ds_write_b128 v165, v[108:111] offset:64
	ds_write_b128 v165, v[112:115] offset:128
	;; [unrolled: 1-line block ×12, first 2 shown]
	s_and_saveexec_b32 s1, s0
	s_cbranch_execz .LBB0_17
; %bb.16:
	v_mul_f64 v[100:101], v[26:27], v[82:83]
	v_mul_f64 v[104:105], v[14:15], v[66:67]
	;; [unrolled: 1-line block ×22, first 2 shown]
	v_fma_f64 v[58:59], v[24:25], v[80:81], v[100:101]
	v_mul_f64 v[100:101], v[16:17], v[54:55]
	v_fma_f64 v[104:105], v[12:13], v[64:65], v[104:105]
	v_fma_f64 v[12:13], v[48:49], v[92:93], v[106:107]
	v_fma_f64 v[106:107], v[14:15], v[64:65], -v[66:67]
	v_fma_f64 v[14:15], v[50:51], v[92:93], -v[94:95]
	v_mul_f64 v[64:65], v[20:21], v[70:71]
	v_fma_f64 v[36:37], v[36:37], v[76:77], v[102:103]
	v_fma_f64 v[48:49], v[26:27], v[80:81], -v[82:83]
	v_fma_f64 v[38:39], v[38:39], v[76:77], -v[78:79]
	;; [unrolled: 1-line block ×3, first 2 shown]
	v_fma_f64 v[86:87], v[4:5], v[56:57], v[120:121]
	v_fma_f64 v[4:5], v[44:45], v[88:89], v[122:123]
	v_fma_f64 v[90:91], v[6:7], v[56:57], -v[124:125]
	v_fma_f64 v[6:7], v[46:47], v[88:89], -v[126:127]
	v_fma_f64 v[80:81], v[16:17], v[52:53], v[118:119]
	v_fma_f64 v[50:51], v[28:29], v[84:85], v[108:109]
	;; [unrolled: 1-line block ×3, first 2 shown]
	v_fma_f64 v[30:31], v[34:35], v[72:73], -v[74:75]
	v_fma_f64 v[62:63], v[8:9], v[60:61], v[112:113]
	v_fma_f64 v[24:25], v[40:41], v[96:97], v[114:115]
	v_fma_f64 v[70:71], v[10:11], v[60:61], -v[116:117]
	v_fma_f64 v[26:27], v[42:43], v[96:97], -v[98:99]
	;; [unrolled: 1-line block ×3, first 2 shown]
	v_fma_f64 v[8:9], v[20:21], v[68:69], v[128:129]
	v_add_f64 v[52:53], v[104:105], -v[12:13]
	v_add_f64 v[60:61], v[104:105], v[12:13]
	v_add_f64 v[76:77], v[106:107], -v[14:15]
	v_fma_f64 v[18:19], v[22:23], v[68:69], -v[64:65]
	v_add_f64 v[64:65], v[106:107], v[14:15]
	v_add_f64 v[112:113], v[2:3], v[106:107]
	;; [unrolled: 1-line block ×3, first 2 shown]
	v_add_f64 v[20:21], v[58:59], -v[36:37]
	v_add_f64 v[66:67], v[48:49], -v[38:39]
	;; [unrolled: 1-line block ×3, first 2 shown]
	v_add_f64 v[92:93], v[86:87], v[4:5]
	v_add_f64 v[68:69], v[90:91], -v[6:7]
	v_add_f64 v[44:45], v[90:91], v[6:7]
	v_add_f64 v[10:11], v[48:49], v[38:39]
	v_add_f64 v[32:33], v[50:51], -v[28:29]
	v_add_f64 v[78:79], v[54:55], -v[30:31]
	v_add_f64 v[16:17], v[54:55], v[30:31]
	v_add_f64 v[42:43], v[62:63], -v[24:25]
	v_add_f64 v[74:75], v[62:63], v[24:25]
	;; [unrolled: 2-line block ×3, first 2 shown]
	v_add_f64 v[56:57], v[80:81], -v[8:9]
	v_mul_f64 v[96:97], v[52:53], s[38:39]
	v_mul_f64 v[100:101], v[52:53], s[34:35]
	;; [unrolled: 1-line block ×4, first 2 shown]
	v_add_f64 v[94:95], v[82:83], -v[18:19]
	v_add_f64 v[34:35], v[82:83], v[18:19]
	v_add_f64 v[84:85], v[80:81], v[8:9]
	;; [unrolled: 1-line block ×4, first 2 shown]
	v_mul_f64 v[108:109], v[72:73], s[6:7]
	v_mul_f64 v[104:105], v[72:73], s[20:21]
	;; [unrolled: 1-line block ×13, first 2 shown]
	v_fma_f64 v[118:119], v[64:65], s[40:41], v[96:97]
	v_fma_f64 v[96:97], v[64:65], s[40:41], -v[96:97]
	v_fma_f64 v[120:121], v[60:61], s[40:41], -v[98:99]
	v_fma_f64 v[98:99], v[60:61], s[40:41], v[98:99]
	v_fma_f64 v[122:123], v[64:65], s[30:31], v[100:101]
	v_fma_f64 v[124:125], v[60:61], s[30:31], -v[102:103]
	v_mul_f64 v[167:168], v[94:95], s[34:35]
	v_mul_f64 v[169:170], v[56:57], s[18:19]
	;; [unrolled: 1-line block ×3, first 2 shown]
	v_fma_f64 v[173:174], v[44:45], s[4:5], v[108:109]
	v_fma_f64 v[108:109], v[44:45], s[4:5], -v[108:109]
	v_fma_f64 v[175:176], v[92:93], s[4:5], -v[110:111]
	v_fma_f64 v[110:111], v[92:93], s[4:5], v[110:111]
	v_fma_f64 v[177:178], v[44:45], s[14:15], v[104:105]
	v_fma_f64 v[179:180], v[92:93], s[14:15], -v[106:107]
	v_fma_f64 v[100:101], v[64:65], s[30:31], -v[100:101]
	;; [unrolled: 1-line block ×3, first 2 shown]
	v_mul_f64 v[189:190], v[78:79], s[6:7]
	v_fma_f64 v[218:219], v[22:23], s[16:17], v[128:129]
	v_fma_f64 v[220:221], v[74:75], s[16:17], -v[165:166]
	v_fma_f64 v[128:129], v[22:23], s[16:17], -v[128:129]
	v_fma_f64 v[197:198], v[34:35], s[30:31], v[130:131]
	v_add_f64 v[118:119], v[2:3], v[118:119]
	v_add_f64 v[96:97], v[2:3], v[96:97]
	;; [unrolled: 1-line block ×6, first 2 shown]
	v_fma_f64 v[199:200], v[84:85], s[30:31], -v[167:168]
	v_fma_f64 v[130:131], v[34:35], s[30:31], -v[130:131]
	v_fma_f64 v[167:168], v[84:85], s[30:31], v[167:168]
	v_fma_f64 v[201:202], v[34:35], s[16:17], v[169:170]
	v_fma_f64 v[203:204], v[84:85], s[16:17], -v[171:172]
	v_fma_f64 v[165:166], v[74:75], s[16:17], v[165:166]
	v_fma_f64 v[222:223], v[22:23], s[40:41], v[185:186]
	v_fma_f64 v[224:225], v[74:75], s[40:41], -v[191:192]
	v_fma_f64 v[169:170], v[34:35], s[16:17], -v[169:170]
	v_add_f64 v[100:101], v[2:3], v[100:101]
	v_fma_f64 v[102:103], v[60:61], s[30:31], v[102:103]
	v_mul_f64 v[132:133], v[66:67], s[20:21]
	v_mul_f64 v[181:182], v[20:21], s[28:29]
	v_mul_f64 v[187:188], v[66:67], s[28:29]
	v_mul_f64 v[195:196], v[56:57], s[6:7]
	v_mul_f64 v[216:217], v[72:73], s[38:39]
	v_add_f64 v[118:119], v[173:174], v[118:119]
	v_add_f64 v[96:97], v[108:109], v[96:97]
	v_add_f64 v[120:121], v[175:176], v[120:121]
	v_add_f64 v[98:99], v[110:111], v[98:99]
	v_add_f64 v[108:109], v[177:178], v[122:123]
	v_add_f64 v[110:111], v[179:180], v[124:125]
	v_mul_f64 v[124:125], v[52:53], s[28:29]
	v_mul_f64 v[122:123], v[72:73], s[36:37]
	;; [unrolled: 1-line block ×4, first 2 shown]
	v_fma_f64 v[226:227], v[46:47], s[24:25], -v[134:135]
	v_fma_f64 v[134:135], v[46:47], s[24:25], v[134:135]
	v_fma_f64 v[228:229], v[16:17], s[4:5], v[183:184]
	v_fma_f64 v[230:231], v[46:47], s[4:5], -v[189:190]
	v_fma_f64 v[185:186], v[22:23], s[40:41], -v[185:186]
	v_add_f64 v[100:101], v[104:105], v[100:101]
	v_fma_f64 v[106:107], v[92:93], s[14:15], v[106:107]
	v_add_f64 v[102:103], v[0:1], v[102:103]
	v_add_f64 v[90:91], v[112:113], v[90:91]
	;; [unrolled: 1-line block ×3, first 2 shown]
	v_mul_f64 v[193:194], v[42:43], s[22:23]
	v_mul_f64 v[175:176], v[94:95], s[6:7]
	v_add_f64 v[104:105], v[197:198], v[118:119]
	v_add_f64 v[96:97], v[130:131], v[96:97]
	;; [unrolled: 1-line block ×6, first 2 shown]
	v_mul_f64 v[120:121], v[52:53], s[22:23]
	v_mul_f64 v[197:198], v[76:77], s[22:23]
	v_fma_f64 v[232:233], v[64:65], s[24:25], v[124:125]
	v_mul_f64 v[167:168], v[68:69], s[38:39]
	v_fma_f64 v[201:202], v[16:17], s[24:25], v[126:127]
	v_fma_f64 v[126:127], v[16:17], s[24:25], -v[126:127]
	v_fma_f64 v[124:125], v[64:65], s[24:25], -v[124:125]
	v_mul_f64 v[205:206], v[56:57], s[42:43]
	v_mul_f64 v[130:131], v[94:95], s[42:43]
	v_add_f64 v[100:101], v[169:170], v[100:101]
	v_fma_f64 v[199:200], v[10:11], s[14:15], v[116:117]
	v_fma_f64 v[203:204], v[40:41], s[14:15], -v[132:133]
	v_fma_f64 v[116:117], v[10:11], s[14:15], -v[116:117]
	v_fma_f64 v[132:133], v[40:41], s[14:15], v[132:133]
	v_fma_f64 v[169:170], v[40:41], s[24:25], -v[187:188]
	v_fma_f64 v[183:184], v[16:17], s[4:5], -v[183:184]
	v_add_f64 v[104:105], v[218:219], v[104:105]
	v_add_f64 v[96:97], v[128:129], v[96:97]
	;; [unrolled: 1-line block ×6, first 2 shown]
	v_fma_f64 v[128:129], v[60:61], s[24:25], -v[179:180]
	v_fma_f64 v[218:219], v[44:45], s[30:31], v[122:123]
	v_fma_f64 v[179:180], v[60:61], s[24:25], v[179:180]
	;; [unrolled: 1-line block ×3, first 2 shown]
	v_fma_f64 v[222:223], v[60:61], s[14:15], -v[197:198]
	v_add_f64 v[224:225], v[2:3], v[232:233]
	v_fma_f64 v[165:166], v[10:11], s[24:25], v[181:182]
	v_fma_f64 v[171:172], v[84:85], s[16:17], v[171:172]
	v_fma_f64 v[122:123], v[44:45], s[30:31], -v[122:123]
	v_add_f64 v[100:101], v[185:186], v[100:101]
	v_fma_f64 v[185:186], v[92:93], s[30:31], -v[177:178]
	v_fma_f64 v[177:178], v[92:93], s[30:31], v[177:178]
	v_add_f64 v[124:125], v[2:3], v[124:125]
	v_add_f64 v[82:83], v[90:91], v[82:83]
	;; [unrolled: 1-line block ×3, first 2 shown]
	v_mul_f64 v[173:174], v[88:89], s[22:23]
	v_add_f64 v[104:105], v[201:202], v[104:105]
	v_add_f64 v[126:127], v[126:127], v[96:97]
	;; [unrolled: 1-line block ×8, first 2 shown]
	v_fma_f64 v[226:227], v[34:35], s[4:5], v[195:196]
	v_fma_f64 v[228:229], v[44:45], s[40:41], v[216:217]
	v_fma_f64 v[230:231], v[92:93], s[40:41], -v[167:168]
	v_add_f64 v[179:180], v[0:1], v[179:180]
	v_add_f64 v[220:221], v[2:3], v[220:221]
	;; [unrolled: 1-line block ×4, first 2 shown]
	v_fma_f64 v[191:192], v[74:75], s[40:41], v[191:192]
	v_add_f64 v[183:184], v[183:184], v[100:101]
	v_fma_f64 v[120:121], v[64:65], s[14:15], -v[120:121]
	v_add_f64 v[122:123], v[122:123], v[124:125]
	v_fma_f64 v[124:125], v[84:85], s[4:5], v[175:176]
	v_add_f64 v[70:71], v[82:83], v[70:71]
	v_add_f64 v[62:63], v[80:81], v[62:63]
	;; [unrolled: 1-line block ×8, first 2 shown]
	v_fma_f64 v[108:109], v[84:85], s[4:5], -v[175:176]
	v_add_f64 v[110:111], v[185:186], v[128:129]
	v_add_f64 v[116:117], v[171:172], v[201:202]
	v_fma_f64 v[118:119], v[34:35], s[4:5], -v[195:196]
	v_mul_f64 v[128:129], v[32:33], s[44:45]
	v_add_f64 v[126:127], v[177:178], v[179:180]
	v_fma_f64 v[132:133], v[22:23], s[14:15], v[193:194]
	v_mul_f64 v[134:135], v[42:43], s[6:7]
	v_fma_f64 v[165:166], v[34:35], s[24:25], v[205:206]
	v_add_f64 v[169:170], v[228:229], v[220:221]
	v_add_f64 v[171:172], v[226:227], v[218:219]
	v_mul_f64 v[177:178], v[88:89], s[6:7]
	v_fma_f64 v[179:180], v[84:85], s[24:25], -v[130:131]
	v_add_f64 v[185:186], v[230:231], v[222:223]
	v_fma_f64 v[112:113], v[40:41], s[24:25], v[187:188]
	v_fma_f64 v[114:115], v[46:47], s[4:5], v[189:190]
	v_mul_f64 v[175:176], v[78:79], s[44:45]
	v_fma_f64 v[187:188], v[74:75], s[14:15], -v[173:174]
	v_fma_f64 v[86:87], v[22:23], s[14:15], -v[193:194]
	v_add_f64 v[120:121], v[2:3], v[120:121]
	v_mul_f64 v[189:190], v[32:33], s[18:19]
	v_add_f64 v[54:55], v[70:71], v[54:55]
	v_add_f64 v[50:51], v[62:63], v[50:51]
	;; [unrolled: 1-line block ×4, first 2 shown]
	v_fma_f64 v[116:117], v[44:45], s[40:41], -v[216:217]
	v_add_f64 v[118:119], v[118:119], v[122:123]
	v_fma_f64 v[122:123], v[74:75], s[14:15], v[173:174]
	v_add_f64 v[124:125], v[124:125], v[126:127]
	v_fma_f64 v[126:127], v[16:17], s[40:41], v[128:129]
	v_fma_f64 v[173:174], v[60:61], s[14:15], v[197:198]
	;; [unrolled: 1-line block ×3, first 2 shown]
	v_add_f64 v[165:166], v[165:166], v[169:170]
	v_add_f64 v[132:133], v[132:133], v[171:172]
	v_mul_f64 v[171:172], v[78:79], s[18:19]
	v_fma_f64 v[193:194], v[74:75], s[4:5], -v[177:178]
	v_add_f64 v[179:180], v[179:180], v[185:186]
	v_mul_f64 v[169:170], v[66:67], s[26:27]
	v_fma_f64 v[185:186], v[46:47], s[40:41], -v[175:176]
	v_fma_f64 v[80:81], v[16:17], s[40:41], -v[128:129]
	v_mul_f64 v[62:63], v[76:77], s[8:9]
	v_mul_f64 v[76:77], v[76:77], s[18:19]
	v_fma_f64 v[70:71], v[22:23], s[4:5], -v[134:135]
	v_add_f64 v[48:49], v[54:55], v[48:49]
	v_add_f64 v[50:51], v[50:51], v[58:59]
	;; [unrolled: 1-line block ×4, first 2 shown]
	v_fma_f64 v[114:115], v[34:35], s[24:25], -v[205:206]
	v_add_f64 v[116:117], v[116:117], v[120:121]
	v_add_f64 v[86:87], v[86:87], v[118:119]
	v_fma_f64 v[118:119], v[46:47], s[40:41], v[175:176]
	v_add_f64 v[120:121], v[122:123], v[124:125]
	v_fma_f64 v[122:123], v[92:93], s[40:41], v[167:168]
	;; [unrolled: 2-line block ×3, first 2 shown]
	v_add_f64 v[165:166], v[191:192], v[165:166]
	v_add_f64 v[126:127], v[126:127], v[132:133]
	v_mul_f64 v[132:133], v[52:53], s[18:19]
	v_fma_f64 v[175:176], v[46:47], s[16:17], -v[171:172]
	v_add_f64 v[179:180], v[193:194], v[179:180]
	v_mul_f64 v[52:53], v[52:53], s[8:9]
	v_fma_f64 v[187:188], v[40:41], s[16:17], -v[169:170]
	v_mul_f64 v[134:135], v[72:73], s[28:29]
	v_mul_f64 v[72:73], v[72:73], s[18:19]
	;; [unrolled: 1-line block ×3, first 2 shown]
	v_fma_f64 v[58:59], v[60:61], s[4:5], v[62:63]
	v_add_f64 v[38:39], v[48:49], v[38:39]
	v_add_f64 v[36:37], v[50:51], v[36:37]
	;; [unrolled: 1-line block ×3, first 2 shown]
	v_mul_f64 v[128:129], v[20:21], s[34:35]
	v_add_f64 v[114:115], v[114:115], v[116:117]
	v_add_f64 v[80:81], v[80:81], v[86:87]
	v_fma_f64 v[86:87], v[40:41], s[16:17], v[169:170]
	v_fma_f64 v[116:117], v[84:85], s[24:25], v[130:131]
	v_mul_f64 v[90:91], v[20:21], s[26:27]
	v_add_f64 v[122:123], v[122:123], v[124:125]
	v_mul_f64 v[173:174], v[66:67], s[34:35]
	v_add_f64 v[124:125], v[167:168], v[165:166]
	v_mul_f64 v[167:168], v[68:69], s[28:29]
	v_fma_f64 v[165:166], v[64:65], s[16:17], -v[132:133]
	v_fma_f64 v[68:69], v[60:61], s[16:17], v[76:77]
	v_add_f64 v[169:170], v[175:176], v[179:180]
	v_fma_f64 v[179:180], v[64:65], s[4:5], -v[52:53]
	v_fma_f64 v[132:133], v[64:65], s[16:17], v[132:133]
	v_fma_f64 v[76:77], v[60:61], s[16:17], -v[76:77]
	v_fma_f64 v[52:53], v[64:65], s[4:5], v[52:53]
	v_fma_f64 v[60:61], v[60:61], s[4:5], -v[62:63]
	v_mul_f64 v[64:65], v[56:57], s[38:39]
	v_mul_f64 v[62:63], v[94:95], s[38:39]
	v_mul_f64 v[56:57], v[56:57], s[22:23]
	v_mul_f64 v[94:95], v[94:95], s[22:23]
	v_fma_f64 v[185:186], v[44:45], s[16:17], -v[72:73]
	v_fma_f64 v[48:49], v[92:93], s[16:17], v[54:55]
	v_add_f64 v[50:51], v[0:1], v[58:59]
	v_add_f64 v[70:71], v[70:71], v[114:115]
	v_fma_f64 v[114:115], v[46:47], s[16:17], v[171:172]
	v_fma_f64 v[171:172], v[74:75], s[4:5], v[177:178]
	v_add_f64 v[116:117], v[116:117], v[122:123]
	v_fma_f64 v[122:123], v[44:45], s[24:25], -v[134:135]
	v_fma_f64 v[134:135], v[44:45], s[24:25], v[134:135]
	v_fma_f64 v[177:178], v[92:93], s[24:25], v[167:168]
	v_add_f64 v[165:166], v[2:3], v[165:166]
	v_add_f64 v[58:59], v[0:1], v[68:69]
	v_fma_f64 v[167:168], v[92:93], s[24:25], -v[167:168]
	v_add_f64 v[179:180], v[2:3], v[179:180]
	v_add_f64 v[132:133], v[2:3], v[132:133]
	;; [unrolled: 1-line block ×3, first 2 shown]
	v_fma_f64 v[44:45], v[44:45], s[16:17], v[72:73]
	v_add_f64 v[2:3], v[2:3], v[52:53]
	v_fma_f64 v[52:53], v[92:93], s[16:17], -v[54:55]
	v_add_f64 v[0:1], v[0:1], v[60:61]
	v_add_f64 v[30:31], v[38:39], v[30:31]
	;; [unrolled: 1-line block ×3, first 2 shown]
	v_mul_f64 v[68:69], v[42:43], s[36:37]
	v_mul_f64 v[54:55], v[88:89], s[36:37]
	;; [unrolled: 1-line block ×4, first 2 shown]
	v_fma_f64 v[38:39], v[84:85], s[14:15], v[94:95]
	v_add_f64 v[36:37], v[48:49], v[50:51]
	v_fma_f64 v[60:61], v[34:35], s[40:41], -v[64:65]
	v_fma_f64 v[92:93], v[84:85], s[40:41], v[62:63]
	v_fma_f64 v[62:63], v[84:85], s[40:41], -v[62:63]
	v_mul_f64 v[50:51], v[32:33], s[20:21]
	v_add_f64 v[72:73], v[122:123], v[165:166]
	v_fma_f64 v[122:123], v[34:35], s[14:15], -v[56:57]
	v_add_f64 v[48:49], v[177:178], v[58:59]
	v_add_f64 v[165:166], v[185:186], v[179:180]
	v_fma_f64 v[58:59], v[34:35], s[40:41], v[64:65]
	v_add_f64 v[64:65], v[134:135], v[132:133]
	v_add_f64 v[76:77], v[167:168], v[76:77]
	v_fma_f64 v[34:35], v[34:35], s[14:15], v[56:57]
	v_add_f64 v[2:3], v[44:45], v[2:3]
	v_fma_f64 v[44:45], v[84:85], s[14:15], -v[94:95]
	v_add_f64 v[0:1], v[52:53], v[0:1]
	v_add_f64 v[26:27], v[30:31], v[26:27]
	;; [unrolled: 1-line block ×3, first 2 shown]
	v_mul_f64 v[52:53], v[78:79], s[20:21]
	v_mul_f64 v[32:33], v[32:33], s[34:35]
	;; [unrolled: 1-line block ×3, first 2 shown]
	v_fma_f64 v[84:85], v[22:23], s[24:25], -v[42:43]
	v_fma_f64 v[30:31], v[74:75], s[24:25], v[88:89]
	v_add_f64 v[28:29], v[38:39], v[36:37]
	v_fma_f64 v[56:57], v[22:23], s[30:31], -v[68:69]
	v_fma_f64 v[175:176], v[16:17], s[16:17], -v[189:190]
	v_mul_f64 v[38:39], v[20:21], s[6:7]
	v_add_f64 v[60:61], v[60:61], v[72:73]
	v_fma_f64 v[72:73], v[74:75], s[30:31], v[54:55]
	v_add_f64 v[36:37], v[92:93], v[48:49]
	v_add_f64 v[94:95], v[122:123], v[165:166]
	v_fma_f64 v[48:49], v[22:23], s[30:31], v[68:69]
	v_add_f64 v[58:59], v[58:59], v[64:65]
	v_fma_f64 v[54:55], v[74:75], s[30:31], -v[54:55]
	v_add_f64 v[62:63], v[62:63], v[76:77]
	v_fma_f64 v[22:23], v[22:23], s[24:25], v[42:43]
	v_add_f64 v[2:3], v[34:35], v[2:3]
	v_fma_f64 v[34:35], v[74:75], s[24:25], -v[88:89]
	v_add_f64 v[0:1], v[44:45], v[0:1]
	v_add_f64 v[18:19], v[26:27], v[18:19]
	;; [unrolled: 1-line block ×3, first 2 shown]
	v_mul_f64 v[42:43], v[66:67], s[6:7]
	v_mul_f64 v[20:21], v[20:21], s[38:39]
	;; [unrolled: 1-line block ×3, first 2 shown]
	v_fma_f64 v[66:67], v[16:17], s[30:31], -v[32:33]
	v_fma_f64 v[26:27], v[46:47], s[30:31], v[78:79]
	v_add_f64 v[24:25], v[30:31], v[28:29]
	v_fma_f64 v[44:45], v[16:17], s[14:15], -v[50:51]
	v_add_f64 v[30:31], v[171:172], v[116:117]
	v_add_f64 v[56:57], v[56:57], v[60:61]
	v_fma_f64 v[60:61], v[46:47], s[14:15], v[52:53]
	v_add_f64 v[28:29], v[72:73], v[36:37]
	v_add_f64 v[68:69], v[84:85], v[94:95]
	v_fma_f64 v[36:37], v[16:17], s[14:15], v[50:51]
	v_add_f64 v[48:49], v[48:49], v[58:59]
	v_fma_f64 v[50:51], v[46:47], s[14:15], -v[52:53]
	v_add_f64 v[52:53], v[54:55], v[62:63]
	v_fma_f64 v[16:17], v[16:17], s[30:31], v[32:33]
	v_add_f64 v[2:3], v[22:23], v[2:3]
	v_fma_f64 v[22:23], v[46:47], s[30:31], -v[78:79]
	v_add_f64 v[0:1], v[34:35], v[0:1]
	v_fma_f64 v[32:33], v[10:11], s[30:31], -v[128:129]
	v_add_f64 v[34:35], v[175:176], v[70:71]
	v_add_f64 v[18:19], v[18:19], v[6:7]
	;; [unrolled: 1-line block ×3, first 2 shown]
	v_fma_f64 v[58:59], v[10:11], s[40:41], -v[20:21]
	v_fma_f64 v[54:55], v[10:11], s[4:5], -v[38:39]
	v_fma_f64 v[46:47], v[40:41], s[30:31], v[173:174]
	v_fma_f64 v[82:83], v[10:11], s[16:17], v[90:91]
	v_fma_f64 v[90:91], v[10:11], s[16:17], -v[90:91]
	v_add_f64 v[30:31], v[114:115], v[30:31]
	v_add_f64 v[44:45], v[44:45], v[56:57]
	v_fma_f64 v[56:57], v[40:41], s[4:5], v[42:43]
	v_add_f64 v[60:61], v[60:61], v[28:29]
	v_add_f64 v[62:63], v[66:67], v[68:69]
	v_fma_f64 v[66:67], v[40:41], s[40:41], v[64:65]
	v_add_f64 v[68:69], v[26:27], v[24:25]
	v_add_f64 v[118:119], v[118:119], v[120:121]
	v_fma_f64 v[181:182], v[10:11], s[24:25], -v[181:182]
	v_fma_f64 v[120:121], v[10:11], s[30:31], v[128:129]
	v_fma_f64 v[130:131], v[40:41], s[30:31], -v[173:174]
	v_fma_f64 v[38:39], v[10:11], s[4:5], v[38:39]
	v_add_f64 v[36:37], v[36:37], v[48:49]
	v_fma_f64 v[42:43], v[40:41], s[4:5], -v[42:43]
	v_add_f64 v[48:49], v[50:51], v[52:53]
	v_fma_f64 v[50:51], v[10:11], s[40:41], v[20:21]
	v_add_f64 v[52:53], v[16:17], v[2:3]
	v_fma_f64 v[64:65], v[40:41], s[40:41], -v[64:65]
	v_add_f64 v[70:71], v[22:23], v[0:1]
	v_add_f64 v[16:17], v[32:33], v[34:35]
	v_lshrrev_b32_e32 v32, 2, v153
	v_add_f64 v[28:29], v[18:19], v[14:15]
	v_add_f64 v[26:27], v[4:5], v[12:13]
	;; [unrolled: 1-line block ×9, first 2 shown]
	v_mul_lo_u32 v12, v32, 52
	v_add_f64 v[2:3], v[181:182], v[183:184]
	v_add_f64 v[0:1], v[112:113], v[110:111]
	;; [unrolled: 1-line block ×10, first 2 shown]
	v_or_b32_e32 v12, v12, v137
	v_lshl_add_u32 v12, v12, 4, 0
	ds_write_b128 v12, v[26:29]
	ds_write_b128 v12, v[22:25] offset:64
	ds_write_b128 v12, v[18:21] offset:128
	;; [unrolled: 1-line block ×12, first 2 shown]
.LBB0_17:
	s_or_b32 exec_lo, exec_lo, s1
	v_and_b32_e32 v0, 0xff, v155
	v_and_b32_e32 v1, 0xff, v157
	v_mov_b32_e32 v24, 0x4ec5
	v_mov_b32_e32 v137, 0
	;; [unrolled: 1-line block ×3, first 2 shown]
	v_mul_lo_u16 v0, 0x4f, v0
	v_mul_lo_u16 v1, 0x4f, v1
	v_mul_u32_u24_sdwa v168, v159, v24 dst_sel:DWORD dst_unused:UNUSED_PAD src0_sel:WORD_0 src1_sel:DWORD
	v_mul_u32_u24_sdwa v169, v161, v24 dst_sel:DWORD dst_unused:UNUSED_PAD src0_sel:WORD_0 src1_sel:DWORD
	v_lshlrev_b64 v[116:117], 4, v[136:137]
	v_lshrrev_b16 v0, 12, v0
	v_lshrrev_b16 v1, 12, v1
	v_lshrrev_b32_e32 v2, 20, v168
	v_lshrrev_b32_e32 v3, 20, v169
	v_mul_u32_u24_sdwa v127, v142, v24 dst_sel:DWORD dst_unused:UNUSED_PAD src0_sel:WORD_0 src1_sel:DWORD
	v_mul_lo_u16 v0, v0, 52
	v_mul_lo_u16 v1, v1, 52
	;; [unrolled: 1-line block ×3, first 2 shown]
	v_mul_u32_u24_sdwa v126, v144, v24 dst_sel:DWORD dst_unused:UNUSED_PAD src0_sel:WORD_0 src1_sel:DWORD
	v_mul_u32_u24_sdwa v26, v146, v24 dst_sel:DWORD dst_unused:UNUSED_PAD src0_sel:WORD_0 src1_sel:DWORD
	v_sub_nc_u16 v0, v155, v0
	v_add_co_u32 v118, s0, s12, v116
	v_add_co_ci_u32_e64 v119, s0, s13, v117, s0
	v_sub_nc_u16 v1, v157, v1
	v_mul_lo_u16 v3, v3, 52
	v_sub_nc_u16 v2, v159, v2
	v_mul_u32_u24_sdwa v27, v148, v24 dst_sel:DWORD dst_unused:UNUSED_PAD src0_sel:WORD_0 src1_sel:DWORD
	v_lshrrev_b32_e32 v4, 20, v127
	v_lshlrev_b32_sdwa v128, v25, v0 dst_sel:DWORD dst_unused:UNUSED_PAD src0_sel:DWORD src1_sel:BYTE_0
	v_lshrrev_b32_e32 v28, 20, v126
	v_mul_u32_u24_sdwa v29, v150, v24 dst_sel:DWORD dst_unused:UNUSED_PAD src0_sel:WORD_0 src1_sel:DWORD
	v_lshrrev_b32_e32 v26, 20, v26
	v_mul_u32_u24_sdwa v24, v152, v24 dst_sel:DWORD dst_unused:UNUSED_PAD src0_sel:WORD_0 src1_sel:DWORD
	s_waitcnt lgkmcnt(0)
	s_barrier
	buffer_gl0_inv
	v_lshlrev_b32_sdwa v129, v25, v1 dst_sel:DWORD dst_unused:UNUSED_PAD src0_sel:DWORD src1_sel:BYTE_0
	v_sub_nc_u16 v5, v161, v3
	v_lshlrev_b32_sdwa v130, v25, v2 dst_sel:DWORD dst_unused:UNUSED_PAD src0_sel:DWORD src1_sel:WORD_0
	s_clause 0x1
	global_load_dwordx4 v[8:11], v[118:119], off offset:800
	global_load_dwordx4 v[0:3], v128, s[12:13] offset:800
	v_lshrrev_b32_e32 v27, 20, v27
	v_mul_lo_u16 v4, v4, 52
	v_mul_lo_u16 v28, v28, 52
	v_lshrrev_b32_e32 v29, 20, v29
	v_mul_lo_u16 v26, v26, 52
	v_lshrrev_b32_e32 v24, 20, v24
	v_mul_lo_u16 v27, v27, 52
	v_sub_nc_u16 v4, v142, v4
	v_sub_nc_u16 v28, v144, v28
	v_mul_lo_u16 v29, v29, 52
	v_sub_nc_u16 v26, v146, v26
	v_mul_lo_u16 v24, v24, 52
	v_lshlrev_b32_sdwa v131, v25, v5 dst_sel:DWORD dst_unused:UNUSED_PAD src0_sel:DWORD src1_sel:WORD_0
	v_sub_nc_u16 v27, v148, v27
	v_lshlrev_b32_sdwa v132, v25, v4 dst_sel:DWORD dst_unused:UNUSED_PAD src0_sel:DWORD src1_sel:WORD_0
	v_lshlrev_b32_sdwa v133, v25, v28 dst_sel:DWORD dst_unused:UNUSED_PAD src0_sel:DWORD src1_sel:WORD_0
	v_sub_nc_u16 v28, v150, v29
	v_lshlrev_b32_sdwa v134, v25, v26 dst_sel:DWORD dst_unused:UNUSED_PAD src0_sel:DWORD src1_sel:WORD_0
	v_sub_nc_u16 v24, v152, v24
	s_clause 0x3
	global_load_dwordx4 v[12:15], v129, s[12:13] offset:800
	global_load_dwordx4 v[4:7], v130, s[12:13] offset:800
	;; [unrolled: 1-line block ×4, first 2 shown]
	v_lshlrev_b32_sdwa v135, v25, v27 dst_sel:DWORD dst_unused:UNUSED_PAD src0_sel:DWORD src1_sel:WORD_0
	s_clause 0x1
	global_load_dwordx4 v[56:59], v133, s[12:13] offset:800
	global_load_dwordx4 v[60:63], v134, s[12:13] offset:800
	v_lshlrev_b32_sdwa v166, v25, v28 dst_sel:DWORD dst_unused:UNUSED_PAD src0_sel:DWORD src1_sel:WORD_0
	v_lshlrev_b32_sdwa v167, v25, v24 dst_sel:DWORD dst_unused:UNUSED_PAD src0_sel:DWORD src1_sel:WORD_0
	s_clause 0x2
	global_load_dwordx4 v[64:67], v135, s[12:13] offset:800
	global_load_dwordx4 v[52:55], v166, s[12:13] offset:800
	;; [unrolled: 1-line block ×3, first 2 shown]
	ds_read_b128 v[40:43], v207
	ds_read_b128 v[96:99], v207 offset:9984
	ds_read_b128 v[76:79], v207 offset:10816
	;; [unrolled: 1-line block ×3, first 2 shown]
	ds_read_b128 v[32:35], v212
	ds_read_b128 v[24:27], v211
	ds_read_b128 v[80:83], v207 offset:12480
	ds_read_b128 v[72:75], v207 offset:13312
	ds_read_b128 v[36:39], v210
	ds_read_b128 v[28:31], v209
	v_add_nc_u32_e32 v125, v143, v215
	v_lshrrev_b32_e32 v143, 21, v168
	v_add_nc_u32_e32 v124, v145, v163
	v_add_nc_u32_e32 v123, v147, v214
	v_lshrrev_b32_e32 v145, 21, v169
	v_lshrrev_b32_e32 v147, 21, v127
	v_mul_lo_u16 v127, 0x68, v143
	ds_read_b128 v[100:103], v207 offset:14144
	ds_read_b128 v[84:87], v207 offset:14976
	;; [unrolled: 1-line block ×4, first 2 shown]
	v_add_nc_u32_e32 v122, v149, v158
	v_add_nc_u32_e32 v121, v151, v160
	ds_read_b128 v[108:111], v207 offset:17472
	ds_read_b128 v[92:95], v207 offset:18304
	v_add_nc_u32_e32 v120, v154, v156
	v_mul_lo_u16 v143, 0x68, v145
	v_sub_nc_u16 v145, v159, v127
	v_add_nc_u32_e32 v149, 0, v128
	v_add_nc_u32_e32 v151, 0, v129
	;; [unrolled: 1-line block ×3, first 2 shown]
	ds_read_b128 v[44:47], v213
	ds_read_b128 v[112:115], v207 offset:19136
	v_add_nc_u32_e32 v156, 0, v131
	v_add_nc_u32_e32 v158, 0, v132
	;; [unrolled: 1-line block ×6, first 2 shown]
	ds_read_b128 v[170:173], v125
	ds_read_b128 v[174:177], v124
	ds_read_b128 v[178:181], v123
	ds_read_b128 v[182:185], v122
	ds_read_b128 v[186:189], v121
	ds_read_b128 v[190:193], v120
	v_mov_b32_e32 v163, v137
	s_waitcnt vmcnt(0) lgkmcnt(0)
	s_barrier
	buffer_gl0_inv
	v_mov_b32_e32 v165, v137
	v_lshlrev_b64 v[162:163], 4, v[162:163]
	v_add_nc_u32_e32 v135, 0, v135
	s_mov_b32 s4, 0xe8584caa
	s_mov_b32 s5, 0xbfebb67a
	v_lshlrev_b64 v[164:165], 4, v[164:165]
	s_mov_b32 s7, 0x3febb67a
	v_add_co_u32 v162, s0, s12, v162
	v_add_co_ci_u32_e64 v163, s0, s13, v163, s0
	s_mov_b32 s6, s4
	s_add_u32 s1, s12, 0x4de0
	v_mul_f64 v[127:128], v[98:99], v[10:11]
	v_mul_f64 v[129:130], v[96:97], v[10:11]
	;; [unrolled: 1-line block ×24, first 2 shown]
	v_fma_f64 v[96:97], v[96:97], v[8:9], v[127:128]
	v_fma_f64 v[98:99], v[98:99], v[8:9], -v[129:130]
	v_fma_f64 v[76:77], v[76:77], v[8:9], v[131:132]
	v_fma_f64 v[8:9], v[78:79], v[8:9], -v[10:11]
	;; [unrolled: 2-line block ×12, first 2 shown]
	v_add_f64 v[0:1], v[40:41], -v[96:97]
	v_add_f64 v[2:3], v[42:43], -v[98:99]
	v_add_f64 v[4:5], v[44:45], -v[76:77]
	v_add_f64 v[6:7], v[46:47], -v[8:9]
	v_add_f64 v[8:9], v[32:33], -v[10:11]
	v_add_f64 v[10:11], v[34:35], -v[68:69]
	v_add_f64 v[12:13], v[24:25], -v[70:71]
	v_add_f64 v[14:15], v[26:27], -v[14:15]
	v_add_f64 v[16:17], v[36:37], -v[72:73]
	v_add_f64 v[18:19], v[38:39], -v[74:75]
	v_add_f64 v[20:21], v[28:29], -v[78:79]
	v_add_f64 v[22:23], v[30:31], -v[22:23]
	v_add_f64 v[48:49], v[170:171], -v[80:81]
	v_add_f64 v[50:51], v[172:173], -v[82:83]
	v_add_f64 v[52:53], v[174:175], -v[84:85]
	v_add_f64 v[54:55], v[176:177], -v[56:57]
	v_add_f64 v[56:57], v[178:179], -v[58:59]
	v_add_f64 v[58:59], v[180:181], -v[60:61]
	v_add_f64 v[60:61], v[182:183], -v[62:63]
	v_add_f64 v[62:63], v[184:185], -v[64:65]
	v_add_f64 v[64:65], v[186:187], -v[66:67]
	v_add_f64 v[66:67], v[188:189], -v[86:87]
	v_add_f64 v[68:69], v[190:191], -v[88:89]
	v_add_f64 v[70:71], v[192:193], -v[90:91]
	v_fma_f64 v[40:41], v[40:41], 2.0, -v[0:1]
	v_fma_f64 v[42:43], v[42:43], 2.0, -v[2:3]
	;; [unrolled: 1-line block ×4, first 2 shown]
	ds_write_b128 v207, v[0:3] offset:832
	ds_write_b128 v207, v[4:7] offset:2496
	v_fma_f64 v[0:1], v[32:33], 2.0, -v[8:9]
	v_fma_f64 v[2:3], v[34:35], 2.0, -v[10:11]
	v_fma_f64 v[4:5], v[24:25], 2.0, -v[12:13]
	v_fma_f64 v[6:7], v[26:27], 2.0, -v[14:15]
	v_fma_f64 v[24:25], v[36:37], 2.0, -v[16:17]
	v_fma_f64 v[26:27], v[38:39], 2.0, -v[18:19]
	v_fma_f64 v[28:29], v[28:29], 2.0, -v[20:21]
	v_fma_f64 v[30:31], v[30:31], 2.0, -v[22:23]
	v_fma_f64 v[32:33], v[170:171], 2.0, -v[48:49]
	v_fma_f64 v[34:35], v[172:173], 2.0, -v[50:51]
	v_fma_f64 v[36:37], v[174:175], 2.0, -v[52:53]
	v_fma_f64 v[38:39], v[176:177], 2.0, -v[54:55]
	v_fma_f64 v[72:73], v[178:179], 2.0, -v[56:57]
	v_fma_f64 v[74:75], v[180:181], 2.0, -v[58:59]
	v_fma_f64 v[76:77], v[182:183], 2.0, -v[60:61]
	v_fma_f64 v[78:79], v[184:185], 2.0, -v[62:63]
	v_fma_f64 v[80:81], v[186:187], 2.0, -v[64:65]
	v_fma_f64 v[82:83], v[188:189], 2.0, -v[66:67]
	v_fma_f64 v[84:85], v[190:191], 2.0, -v[68:69]
	v_fma_f64 v[86:87], v[192:193], 2.0, -v[70:71]
	ds_write_b128 v207, v[40:43]
	ds_write_b128 v207, v[44:47] offset:1664
	ds_write_b128 v149, v[8:11] offset:4160
	ds_write_b128 v151, v[12:15] offset:5824
	ds_write_b128 v154, v[16:19] offset:7488
	ds_write_b128 v156, v[20:23] offset:9152
	ds_write_b128 v158, v[48:51] offset:10816
	ds_write_b128 v160, v[52:55] offset:12480
	ds_write_b128 v206, v[56:59] offset:14144
	ds_write_b128 v135, v[60:63] offset:15808
	ds_write_b128 v216, v[64:67] offset:17472
	ds_write_b128 v217, v[68:71] offset:19136
	ds_write_b128 v149, v[0:3] offset:3328
	ds_write_b128 v151, v[4:7] offset:4992
	ds_write_b128 v154, v[24:27] offset:6656
	ds_write_b128 v156, v[28:31] offset:8320
	ds_write_b128 v158, v[32:35] offset:9984
	ds_write_b128 v160, v[36:39] offset:11648
	ds_write_b128 v206, v[72:75] offset:13312
	ds_write_b128 v135, v[76:79] offset:14976
	ds_write_b128 v216, v[80:83] offset:16640
	ds_write_b128 v217, v[84:87] offset:18304
	s_waitcnt lgkmcnt(0)
	s_barrier
	buffer_gl0_inv
	global_load_dwordx4 v[4:7], v[162:163], off offset:1632
	v_sub_nc_u16 v17, v161, v143
	v_and_b32_e32 v68, 0xffff, v145
	v_add_co_u32 v8, s0, s12, v164
	v_lshrrev_b32_e32 v16, 21, v126
	v_mul_lo_u16 v18, 0x68, v147
	v_add_co_ci_u32_e64 v9, s0, s13, v165, s0
	v_and_b32_e32 v69, 0xffff, v17
	v_lshlrev_b32_e32 v17, 5, v68
	global_load_dwordx4 v[0:3], v[162:163], off offset:1648
	v_mul_lo_u16 v16, 0x68, v16
	v_sub_nc_u16 v18, v142, v18
	s_clause 0x2
	global_load_dwordx4 v[12:15], v[8:9], off offset:1632
	global_load_dwordx4 v[24:27], v17, s[12:13] offset:1632
	global_load_dwordx4 v[8:11], v[8:9], off offset:1648
	v_sub_nc_u16 v28, v144, v16
	v_and_b32_e32 v70, 0xffff, v18
	v_lshlrev_b32_e32 v29, 5, v69
	s_clause 0x1
	global_load_dwordx4 v[20:23], v17, s[12:13] offset:1648
	global_load_dwordx4 v[16:19], v29, s[12:13] offset:1632
	v_and_b32_e32 v71, 0xffff, v28
	v_lshlrev_b32_e32 v28, 5, v70
	s_clause 0x1
	global_load_dwordx4 v[36:39], v29, s[12:13] offset:1648
	global_load_dwordx4 v[32:35], v28, s[12:13] offset:1632
	v_lshlrev_b32_e32 v40, 5, v71
	s_clause 0x2
	global_load_dwordx4 v[28:31], v28, s[12:13] offset:1648
	global_load_dwordx4 v[44:47], v40, s[12:13] offset:1632
	;; [unrolled: 1-line block ×3, first 2 shown]
	v_mov_b32_e32 v154, v137
	v_mov_b32_e32 v156, v137
	;; [unrolled: 1-line block ×5, first 2 shown]
	v_lshlrev_b64 v[56:57], 4, v[153:154]
	v_lshlrev_b64 v[54:55], 4, v[155:156]
	;; [unrolled: 1-line block ×5, first 2 shown]
	v_lshl_add_u32 v143, v68, 4, 0
	v_lshl_add_u32 v145, v69, 4, 0
	;; [unrolled: 1-line block ×4, first 2 shown]
	ds_read_b128 v[68:71], v123
	ds_read_b128 v[72:75], v207
	ds_read_b128 v[76:79], v207 offset:7488
	ds_read_b128 v[80:83], v207 offset:13312
	;; [unrolled: 1-line block ×3, first 2 shown]
	ds_read_b128 v[88:91], v213
	ds_read_b128 v[92:95], v212
	ds_read_b128 v[96:99], v207 offset:8320
	ds_read_b128 v[100:103], v207 offset:9152
	;; [unrolled: 1-line block ×4, first 2 shown]
	ds_read_b128 v[112:115], v211
	ds_read_b128 v[126:129], v210
	ds_read_b128 v[130:133], v207 offset:9984
	ds_read_b128 v[153:156], v207 offset:10816
	;; [unrolled: 1-line block ×4, first 2 shown]
	ds_read_b128 v[165:168], v209
	ds_read_b128 v[169:172], v125
	;; [unrolled: 1-line block ×3, first 2 shown]
	ds_read_b128 v[177:180], v207 offset:11648
	ds_read_b128 v[181:184], v207 offset:12480
	;; [unrolled: 1-line block ×4, first 2 shown]
	v_add_co_u32 v134, s0, 0x1000, v118
	v_add_co_ci_u32_e64 v135, s0, 0, v119, s0
	v_add_co_u32 v58, s0, s12, v56
	v_add_co_ci_u32_e64 v59, s0, s13, v57, s0
	;; [unrolled: 2-line block ×10, first 2 shown]
	s_waitcnt vmcnt(0) lgkmcnt(0)
	s_barrier
	buffer_gl0_inv
	v_mov_b32_e32 v151, v137
	v_mul_f64 v[201:202], v[70:71], v[6:7]
	v_mul_f64 v[203:204], v[68:69], v[6:7]
	;; [unrolled: 1-line block ×21, first 2 shown]
	v_fma_f64 v[68:69], v[68:69], v[4:5], v[201:202]
	v_fma_f64 v[70:71], v[70:71], v[4:5], -v[203:204]
	v_mul_f64 v[18:19], v[153:154], v[18:19]
	v_mul_f64 v[201:202], v[163:164], v[38:39]
	v_fma_f64 v[96:97], v[96:97], v[4:5], v[214:215]
	v_fma_f64 v[4:5], v[98:99], v[4:5], -v[6:7]
	v_mul_f64 v[6:7], v[161:162], v[38:39]
	v_mul_f64 v[38:39], v[179:180], v[34:35]
	;; [unrolled: 1-line block ×5, first 2 shown]
	v_fma_f64 v[80:81], v[80:81], v[0:1], v[205:206]
	v_mul_f64 v[203:204], v[183:184], v[46:47]
	v_mul_f64 v[46:47], v[181:182], v[46:47]
	;; [unrolled: 1-line block ×4, first 2 shown]
	v_fma_f64 v[82:83], v[82:83], v[0:1], -v[216:217]
	v_fma_f64 v[76:77], v[76:77], v[12:13], v[218:219]
	v_fma_f64 v[78:79], v[78:79], v[12:13], -v[220:221]
	v_fma_f64 v[84:85], v[84:85], v[8:9], v[222:223]
	;; [unrolled: 2-line block ×13, first 2 shown]
	v_fma_f64 v[40:41], v[191:192], v[40:41], -v[42:43]
	v_add_f64 v[42:43], v[72:73], v[68:69]
	v_add_f64 v[44:45], v[68:69], v[80:81]
	v_add_f64 v[46:47], v[70:71], -v[82:83]
	v_add_f64 v[98:99], v[74:75], v[70:71]
	v_add_f64 v[70:71], v[70:71], v[82:83]
	;; [unrolled: 1-line block ×3, first 2 shown]
	v_add_f64 v[108:109], v[78:79], -v[86:87]
	v_add_f64 v[110:111], v[90:91], v[78:79]
	v_add_f64 v[78:79], v[78:79], v[86:87]
	;; [unrolled: 1-line block ×14, first 2 shown]
	v_add_f64 v[238:239], v[34:35], -v[40:41]
	v_add_f64 v[240:241], v[175:176], v[34:35]
	v_add_f64 v[34:35], v[34:35], v[40:41]
	v_add_f64 v[68:69], v[68:69], -v[80:81]
	v_add_f64 v[159:160], v[112:113], v[0:1]
	v_add_f64 v[181:182], v[0:1], -v[12:13]
	v_add_f64 v[183:184], v[126:127], v[8:9]
	v_add_f64 v[222:223], v[169:170], v[6:7]
	;; [unrolled: 1-line block ×3, first 2 shown]
	v_fma_f64 v[42:43], v[44:45], -0.5, v[72:73]
	v_fma_f64 v[44:45], v[70:71], -0.5, v[74:75]
	v_add_f64 v[189:190], v[128:129], v[10:11]
	v_add_f64 v[203:204], v[165:166], v[22:23]
	v_add_f64 v[216:217], v[167:168], v[16:17]
	v_add_f64 v[228:229], v[171:172], v[18:19]
	v_add_f64 v[234:235], v[173:174], v[30:31]
	v_add_f64 v[100:101], v[88:89], v[76:77]
	v_add_f64 v[76:77], v[76:77], -v[84:85]
	v_fma_f64 v[70:71], v[102:103], -0.5, v[88:89]
	v_fma_f64 v[72:73], v[78:79], -0.5, v[90:91]
	v_add_f64 v[130:131], v[92:93], v[96:97]
	v_add_f64 v[153:154], v[4:5], -v[106:107]
	v_add_f64 v[96:97], v[96:97], -v[104:105]
	v_fma_f64 v[74:75], v[132:133], -0.5, v[92:93]
	v_fma_f64 v[78:79], v[157:158], -0.5, v[94:95]
	v_add_f64 v[177:178], v[114:115], v[2:3]
	v_add_f64 v[163:164], v[2:3], -v[14:15]
	v_add_f64 v[2:3], v[98:99], v[82:83]
	v_fma_f64 v[80:81], v[161:162], -0.5, v[112:113]
	v_fma_f64 v[82:83], v[179:180], -0.5, v[114:115]
	v_add_f64 v[187:188], v[10:11], -v[20:21]
	v_add_f64 v[201:202], v[8:9], -v[24:25]
	;; [unrolled: 1-line block ×3, first 2 shown]
	v_add_f64 v[6:7], v[110:111], v[86:87]
	v_fma_f64 v[86:87], v[185:186], -0.5, v[126:127]
	v_fma_f64 v[90:91], v[191:192], -0.5, v[128:129]
	v_add_f64 v[214:215], v[16:17], -v[36:37]
	v_add_f64 v[220:221], v[22:23], -v[26:27]
	v_fma_f64 v[94:95], v[205:206], -0.5, v[165:166]
	v_fma_f64 v[98:99], v[218:219], -0.5, v[167:168]
	v_add_f64 v[226:227], v[18:19], -v[28:29]
	v_add_f64 v[10:11], v[155:156], v[106:107]
	v_fma_f64 v[102:103], v[224:225], -0.5, v[169:170]
	v_fma_f64 v[106:107], v[230:231], -0.5, v[171:172]
	v_add_f64 v[242:243], v[30:31], -v[38:39]
	v_fma_f64 v[110:111], v[236:237], -0.5, v[173:174]
	v_fma_f64 v[114:115], v[34:35], -0.5, v[175:176]
	v_add_f64 v[16:17], v[183:184], v[24:25]
	v_add_f64 v[24:25], v[222:223], v[32:33]
	v_fma_f64 v[32:33], v[46:47], s[4:5], v[42:43]
	v_fma_f64 v[34:35], v[68:69], s[6:7], v[44:45]
	v_add_f64 v[18:19], v[189:190], v[20:21]
	v_add_f64 v[20:21], v[203:204], v[26:27]
	;; [unrolled: 1-line block ×5, first 2 shown]
	v_fma_f64 v[36:37], v[46:47], s[6:7], v[42:43]
	v_fma_f64 v[38:39], v[68:69], s[4:5], v[44:45]
	v_add_f64 v[4:5], v[100:101], v[84:85]
	v_add_f64 v[30:31], v[240:241], v[40:41]
	v_fma_f64 v[40:41], v[108:109], s[4:5], v[70:71]
	v_fma_f64 v[42:43], v[76:77], s[6:7], v[72:73]
	;; [unrolled: 1-line block ×4, first 2 shown]
	v_add_f64 v[8:9], v[130:131], v[104:105]
	v_fma_f64 v[68:69], v[153:154], s[4:5], v[74:75]
	v_fma_f64 v[70:71], v[96:97], s[6:7], v[78:79]
	;; [unrolled: 1-line block ×4, first 2 shown]
	v_add_f64 v[12:13], v[159:160], v[12:13]
	v_add_f64 v[14:15], v[177:178], v[14:15]
	v_fma_f64 v[76:77], v[163:164], s[4:5], v[80:81]
	v_fma_f64 v[78:79], v[181:182], s[6:7], v[82:83]
	;; [unrolled: 1-line block ×20, first 2 shown]
	ds_write_b128 v207, v[0:3]
	ds_write_b128 v207, v[32:35] offset:1664
	ds_write_b128 v207, v[36:39] offset:3328
	ds_write_b128 v213, v[4:7]
	ds_write_b128 v213, v[40:43] offset:1664
	ds_write_b128 v213, v[44:47] offset:3328
	;; [unrolled: 1-line block ×20, first 2 shown]
	s_waitcnt lgkmcnt(0)
	s_barrier
	buffer_gl0_inv
	s_clause 0x2
	global_load_dwordx4 v[20:23], v[134:135], off offset:864
	global_load_dwordx4 v[8:11], v[193:194], off offset:864
	;; [unrolled: 1-line block ×3, first 2 shown]
	v_add_co_u32 v16, s0, 0x1000, v66
	v_add_co_ci_u32_e64 v17, s0, 0, v67, s0
	s_clause 0x2
	global_load_dwordx4 v[12:15], v[197:198], off offset:864
	global_load_dwordx4 v[4:7], v[199:200], off offset:864
	;; [unrolled: 1-line block ×3, first 2 shown]
	v_mov_b32_e32 v143, v137
	v_mov_b32_e32 v145, v137
	;; [unrolled: 1-line block ×3, first 2 shown]
	v_add_co_u32 v114, s0, 0x2000, v118
	v_lshlrev_b64 v[34:35], 4, v[142:143]
	v_lshlrev_b64 v[32:33], 4, v[144:145]
	v_mov_b32_e32 v149, v137
	v_add_co_ci_u32_e64 v115, s0, 0, v119, s0
	v_lshlrev_b64 v[30:31], 4, v[146:147]
	v_add_co_u32 v36, s0, s12, v34
	v_add_co_ci_u32_e64 v37, s0, s13, v35, s0
	v_lshlrev_b64 v[28:29], 4, v[148:149]
	v_add_co_u32 v38, s0, s12, v32
	v_mov_b32_e32 v153, v137
	v_add_co_ci_u32_e64 v39, s0, s13, v33, s0
	v_lshlrev_b64 v[26:27], 4, v[150:151]
	v_add_co_u32 v40, s0, s12, v30
	v_add_co_ci_u32_e64 v41, s0, s13, v31, s0
	v_lshlrev_b64 v[24:25], 4, v[152:153]
	v_add_co_u32 v137, s0, s12, v28
	v_add_co_ci_u32_e64 v206, s0, s13, v29, s0
	v_add_co_u32 v218, s0, s12, v26
	v_add_co_ci_u32_e64 v219, s0, s13, v27, s0
	;; [unrolled: 2-line block ×11, first 2 shown]
	ds_read_b128 v[36:39], v207
	ds_read_b128 v[40:43], v207 offset:9984
	ds_read_b128 v[44:47], v207 offset:10816
	ds_read_b128 v[58:61], v207 offset:11648
	ds_read_b128 v[62:65], v212
	ds_read_b128 v[66:69], v211
	ds_read_b128 v[70:73], v207 offset:12480
	ds_read_b128 v[74:77], v207 offset:13312
	ds_read_b128 v[78:81], v210
	ds_read_b128 v[82:85], v209
	ds_read_b128 v[86:89], v207 offset:14144
	ds_read_b128 v[90:93], v207 offset:14976
	;; [unrolled: 4-line block ×4, first 2 shown]
	ds_read_b128 v[146:149], v121
	ds_read_b128 v[150:153], v120
	;; [unrolled: 1-line block ×3, first 2 shown]
	ds_read_b128 v[158:161], v207 offset:19136
	s_waitcnt vmcnt(0) lgkmcnt(0)
	s_barrier
	buffer_gl0_inv
	s_addc_u32 s4, s13, 0
	s_mov_b32 s5, exec_lo
	v_mul_f64 v[174:175], v[42:43], v[22:23]
	v_mul_f64 v[176:177], v[40:41], v[22:23]
	;; [unrolled: 1-line block ×24, first 2 shown]
	v_fma_f64 v[40:41], v[40:41], v[20:21], v[174:175]
	v_fma_f64 v[42:43], v[42:43], v[20:21], -v[176:177]
	v_fma_f64 v[44:45], v[44:45], v[8:9], v[178:179]
	v_fma_f64 v[46:47], v[46:47], v[8:9], -v[180:181]
	;; [unrolled: 2-line block ×12, first 2 shown]
	v_add_f64 v[0:1], v[36:37], -v[40:41]
	v_add_f64 v[2:3], v[38:39], -v[42:43]
	;; [unrolled: 1-line block ×24, first 2 shown]
	v_fma_f64 v[36:37], v[36:37], 2.0, -v[0:1]
	v_fma_f64 v[38:39], v[38:39], 2.0, -v[2:3]
	;; [unrolled: 1-line block ×24, first 2 shown]
	ds_write_b128 v207, v[0:3] offset:4992
	ds_write_b128 v207, v[36:39]
	ds_write_b128 v213, v[90:93]
	ds_write_b128 v213, v[4:7] offset:4992
	ds_write_b128 v212, v[62:65]
	ds_write_b128 v212, v[8:11] offset:4992
	ds_write_b128 v211, v[66:69]
	ds_write_b128 v211, v[12:15] offset:4992
	ds_write_b128 v210, v[78:81]
	ds_write_b128 v210, v[16:19] offset:4992
	ds_write_b128 v209, v[82:85]
	ds_write_b128 v209, v[20:23] offset:4992
	ds_write_b128 v207, v[94:97] offset:9984
	ds_write_b128 v207, v[40:43] offset:14976
	;; [unrolled: 1-line block ×12, first 2 shown]
	s_waitcnt lgkmcnt(0)
	s_barrier
	buffer_gl0_inv
	s_clause 0x4
	global_load_dwordx4 v[0:3], v[114:115], off offset:1760
	global_load_dwordx4 v[4:7], v[118:119], off offset:1760
	;; [unrolled: 1-line block ×5, first 2 shown]
	v_add_co_u32 v58, s0, 0x2000, v137
	v_add_co_ci_u32_e64 v59, s0, 0, v206, s0
	v_add_co_u32 v62, s0, 0x2000, v218
	s_clause 0x3
	global_load_dwordx4 v[20:23], v[166:167], off offset:1760
	global_load_dwordx4 v[36:39], v[168:169], off offset:1760
	;; [unrolled: 1-line block ×4, first 2 shown]
	v_add_co_ci_u32_e64 v63, s0, 0, v219, s0
	v_add_co_u32 v66, s0, 0x2000, v220
	v_add_co_ci_u32_e64 v67, s0, 0, v221, s0
	s_clause 0x2
	global_load_dwordx4 v[58:61], v[58:59], off offset:1760
	global_load_dwordx4 v[62:65], v[62:63], off offset:1760
	;; [unrolled: 1-line block ×3, first 2 shown]
	ds_read_b128 v[70:73], v207
	ds_read_b128 v[74:77], v207 offset:9984
	ds_read_b128 v[78:81], v207 offset:10816
	;; [unrolled: 1-line block ×3, first 2 shown]
	ds_read_b128 v[86:89], v212
	ds_read_b128 v[90:93], v211
	ds_read_b128 v[94:97], v207 offset:12480
	ds_read_b128 v[98:101], v207 offset:13312
	ds_read_b128 v[102:105], v210
	ds_read_b128 v[106:109], v209
	ds_read_b128 v[110:113], v207 offset:14144
	ds_read_b128 v[126:129], v207 offset:14976
	;; [unrolled: 4-line block ×4, first 2 shown]
	ds_read_b128 v[170:173], v121
	ds_read_b128 v[174:177], v120
	;; [unrolled: 1-line block ×3, first 2 shown]
	ds_read_b128 v[182:185], v207 offset:19136
	s_waitcnt vmcnt(0) lgkmcnt(0)
	s_barrier
	buffer_gl0_inv
	v_mul_f64 v[118:119], v[80:81], v[6:7]
	v_mul_f64 v[6:7], v[78:79], v[6:7]
	v_mul_f64 v[114:115], v[76:77], v[2:3]
	v_mul_f64 v[2:3], v[74:75], v[2:3]
	v_mul_f64 v[134:135], v[84:85], v[10:11]
	v_mul_f64 v[10:11], v[82:83], v[10:11]
	v_mul_f64 v[186:187], v[96:97], v[14:15]
	v_mul_f64 v[14:15], v[94:95], v[14:15]
	v_mul_f64 v[188:189], v[100:101], v[18:19]
	v_mul_f64 v[18:19], v[98:99], v[18:19]
	v_mul_f64 v[190:191], v[112:113], v[22:23]
	v_mul_f64 v[22:23], v[110:111], v[22:23]
	v_mul_f64 v[192:193], v[128:129], v[38:39]
	v_mul_f64 v[38:39], v[126:127], v[38:39]
	v_mul_f64 v[194:195], v[148:149], v[42:43]
	v_mul_f64 v[42:43], v[146:147], v[42:43]
	v_mul_f64 v[196:197], v[152:153], v[46:47]
	v_mul_f64 v[46:47], v[150:151], v[46:47]
	v_mul_f64 v[198:199], v[164:165], v[60:61]
	v_mul_f64 v[60:61], v[162:163], v[60:61]
	v_mul_f64 v[200:201], v[168:169], v[64:65]
	v_mul_f64 v[64:65], v[166:167], v[64:65]
	v_mul_f64 v[202:203], v[184:185], v[68:69]
	v_mul_f64 v[68:69], v[182:183], v[68:69]
	v_fma_f64 v[74:75], v[74:75], v[0:1], v[114:115]
	v_fma_f64 v[2:3], v[76:77], v[0:1], -v[2:3]
	v_fma_f64 v[76:77], v[78:79], v[4:5], v[118:119]
	v_fma_f64 v[6:7], v[80:81], v[4:5], -v[6:7]
	;; [unrolled: 2-line block ×12, first 2 shown]
	v_add_f64 v[0:1], v[70:71], -v[74:75]
	v_add_f64 v[2:3], v[72:73], -v[2:3]
	;; [unrolled: 1-line block ×24, first 2 shown]
	v_fma_f64 v[70:71], v[70:71], 2.0, -v[0:1]
	v_fma_f64 v[72:73], v[72:73], 2.0, -v[2:3]
	;; [unrolled: 1-line block ×24, first 2 shown]
	ds_write_b128 v207, v[0:3] offset:9984
	ds_write_b128 v207, v[70:73]
	ds_write_b128 v213, v[74:77]
	ds_write_b128 v213, v[4:7] offset:9984
	ds_write_b128 v212, v[78:81]
	ds_write_b128 v212, v[8:11] offset:9984
	;; [unrolled: 2-line block ×11, first 2 shown]
	s_waitcnt lgkmcnt(0)
	s_barrier
	buffer_gl0_inv
	ds_read_b128 v[8:11], v207
	v_sub_nc_u32_e32 v12, 0, v208
                                        ; implicit-def: $vgpr2_vgpr3
                                        ; implicit-def: $vgpr6_vgpr7
	v_cmpx_ne_u32_e32 0, v136
	s_xor_b32 s5, exec_lo, s5
	s_cbranch_execz .LBB0_19
; %bb.18:
	v_add_co_u32 v0, s0, s1, v116
	v_add_co_ci_u32_e64 v1, s0, s4, v117, s0
	ds_read_b128 v[13:16], v12 offset:19968
	global_load_dwordx4 v[2:5], v[0:1], off
	s_waitcnt lgkmcnt(0)
	v_add_f64 v[0:1], v[8:9], -v[13:14]
	v_add_f64 v[6:7], v[10:11], v[15:16]
	v_add_f64 v[10:11], v[10:11], -v[15:16]
	v_mul_f64 v[15:16], v[0:1], 0.5
	v_add_f64 v[0:1], v[8:9], v[13:14]
	v_mul_f64 v[8:9], v[6:7], 0.5
	v_mul_f64 v[6:7], v[10:11], 0.5
	s_waitcnt vmcnt(0)
	v_mul_f64 v[10:11], v[15:16], v[4:5]
	v_fma_f64 v[13:14], v[8:9], v[4:5], v[6:7]
	v_fma_f64 v[17:18], v[0:1], 0.5, v[10:11]
	v_fma_f64 v[0:1], v[0:1], 0.5, -v[10:11]
	v_fma_f64 v[10:11], v[8:9], v[4:5], -v[6:7]
	v_fma_f64 v[6:7], -v[2:3], v[15:16], v[13:14]
	v_fma_f64 v[4:5], v[8:9], v[2:3], v[17:18]
	v_fma_f64 v[0:1], -v[8:9], v[2:3], v[0:1]
	v_fma_f64 v[2:3], -v[2:3], v[15:16], v[10:11]
                                        ; implicit-def: $vgpr8_vgpr9
.LBB0_19:
	s_andn2_saveexec_b32 s0, s5
	s_cbranch_execz .LBB0_21
; %bb.20:
	v_mov_b32_e32 v15, 0
	s_waitcnt lgkmcnt(0)
	v_add_f64 v[4:5], v[8:9], v[10:11]
	v_add_f64 v[0:1], v[8:9], -v[10:11]
	v_mov_b32_e32 v6, 0
	v_mov_b32_e32 v7, 0
	ds_read_b64 v[13:14], v15 offset:9992
	v_mov_b32_e32 v2, v6
	v_mov_b32_e32 v3, v7
	s_waitcnt lgkmcnt(0)
	v_xor_b32_e32 v14, 0x80000000, v14
	ds_write_b64 v15, v[13:14] offset:9992
.LBB0_21:
	s_or_b32 exec_lo, exec_lo, s0
	s_waitcnt lgkmcnt(0)
	v_add_co_u32 v8, s0, s1, v56
	v_add_co_ci_u32_e64 v9, s0, s4, v57, s0
	v_add_co_u32 v13, s0, s1, v54
	v_add_co_ci_u32_e64 v14, s0, s4, v55, s0
	global_load_dwordx4 v[8:11], v[8:9], off
	v_add_co_u32 v17, s0, s1, v52
	global_load_dwordx4 v[13:16], v[13:14], off
	ds_write_b128 v207, v[4:7]
	ds_write_b128 v12, v[0:3] offset:19968
	ds_read_b128 v[0:3], v213
	ds_read_b128 v[4:7], v12 offset:19136
	v_add_co_ci_u32_e64 v18, s0, s4, v53, s0
	global_load_dwordx4 v[17:20], v[17:18], off
	s_waitcnt lgkmcnt(0)
	v_add_f64 v[21:22], v[0:1], -v[4:5]
	v_add_f64 v[36:37], v[2:3], v[6:7]
	v_add_f64 v[2:3], v[2:3], -v[6:7]
	v_add_f64 v[0:1], v[0:1], v[4:5]
	v_mul_f64 v[6:7], v[21:22], 0.5
	v_mul_f64 v[21:22], v[36:37], 0.5
	v_mul_f64 v[2:3], v[2:3], 0.5
	s_waitcnt vmcnt(2)
	v_mul_f64 v[4:5], v[6:7], v[10:11]
	v_fma_f64 v[36:37], v[21:22], v[10:11], v[2:3]
	v_fma_f64 v[10:11], v[21:22], v[10:11], -v[2:3]
	v_fma_f64 v[38:39], v[0:1], 0.5, v[4:5]
	v_fma_f64 v[4:5], v[0:1], 0.5, -v[4:5]
	v_fma_f64 v[2:3], -v[8:9], v[6:7], v[36:37]
	v_fma_f64 v[6:7], -v[8:9], v[6:7], v[10:11]
	v_fma_f64 v[0:1], v[21:22], v[8:9], v[38:39]
	v_fma_f64 v[4:5], -v[21:22], v[8:9], v[4:5]
	v_add_co_u32 v8, s0, s1, v50
	v_add_co_ci_u32_e64 v9, s0, s4, v51, s0
	ds_write_b128 v213, v[0:3]
	ds_write_b128 v12, v[4:7] offset:19136
	ds_read_b128 v[0:3], v212
	ds_read_b128 v[4:7], v12 offset:18304
	global_load_dwordx4 v[8:11], v[8:9], off
	s_waitcnt lgkmcnt(0)
	v_add_f64 v[21:22], v[0:1], -v[4:5]
	v_add_f64 v[36:37], v[2:3], v[6:7]
	v_add_f64 v[2:3], v[2:3], -v[6:7]
	v_add_f64 v[0:1], v[0:1], v[4:5]
	v_mul_f64 v[6:7], v[21:22], 0.5
	v_mul_f64 v[21:22], v[36:37], 0.5
	v_mul_f64 v[2:3], v[2:3], 0.5
	s_waitcnt vmcnt(2)
	v_mul_f64 v[4:5], v[6:7], v[15:16]
	v_fma_f64 v[36:37], v[21:22], v[15:16], v[2:3]
	v_fma_f64 v[15:16], v[21:22], v[15:16], -v[2:3]
	v_fma_f64 v[38:39], v[0:1], 0.5, v[4:5]
	v_fma_f64 v[4:5], v[0:1], 0.5, -v[4:5]
	v_fma_f64 v[2:3], -v[13:14], v[6:7], v[36:37]
	v_fma_f64 v[6:7], -v[13:14], v[6:7], v[15:16]
	v_fma_f64 v[0:1], v[21:22], v[13:14], v[38:39]
	v_fma_f64 v[4:5], -v[21:22], v[13:14], v[4:5]
	v_add_co_u32 v13, s0, s1, v48
	v_add_co_ci_u32_e64 v14, s0, s4, v49, s0
	ds_write_b128 v212, v[0:3]
	ds_write_b128 v12, v[4:7] offset:18304
	ds_read_b128 v[0:3], v211
	ds_read_b128 v[4:7], v12 offset:17472
	;; [unrolled: 25-line block ×8, first 2 shown]
	global_load_dwordx4 v[13:16], v[13:14], off
	s_waitcnt lgkmcnt(0)
	v_add_f64 v[21:22], v[0:1], -v[4:5]
	v_add_f64 v[23:24], v[2:3], v[6:7]
	v_add_f64 v[2:3], v[2:3], -v[6:7]
	v_add_f64 v[0:1], v[0:1], v[4:5]
	v_mul_f64 v[6:7], v[21:22], 0.5
	v_mul_f64 v[21:22], v[23:24], 0.5
	;; [unrolled: 1-line block ×3, first 2 shown]
	s_waitcnt vmcnt(2)
	v_mul_f64 v[4:5], v[6:7], v[19:20]
	v_fma_f64 v[23:24], v[21:22], v[19:20], v[2:3]
	v_fma_f64 v[19:20], v[21:22], v[19:20], -v[2:3]
	v_fma_f64 v[25:26], v[0:1], 0.5, v[4:5]
	v_fma_f64 v[4:5], v[0:1], 0.5, -v[4:5]
	v_fma_f64 v[2:3], -v[17:18], v[6:7], v[23:24]
	v_fma_f64 v[6:7], -v[17:18], v[6:7], v[19:20]
	v_fma_f64 v[0:1], v[21:22], v[17:18], v[25:26]
	v_fma_f64 v[4:5], -v[21:22], v[17:18], v[4:5]
	ds_write_b128 v122, v[0:3]
	ds_write_b128 v12, v[4:7] offset:12480
	ds_read_b128 v[0:3], v121
	ds_read_b128 v[4:7], v12 offset:11648
	s_waitcnt lgkmcnt(0)
	v_add_f64 v[17:18], v[0:1], -v[4:5]
	v_add_f64 v[19:20], v[2:3], v[6:7]
	v_add_f64 v[2:3], v[2:3], -v[6:7]
	v_add_f64 v[0:1], v[0:1], v[4:5]
	v_mul_f64 v[6:7], v[17:18], 0.5
	v_mul_f64 v[17:18], v[19:20], 0.5
	;; [unrolled: 1-line block ×3, first 2 shown]
	s_waitcnt vmcnt(1)
	v_mul_f64 v[4:5], v[6:7], v[10:11]
	v_fma_f64 v[19:20], v[17:18], v[10:11], v[2:3]
	v_fma_f64 v[10:11], v[17:18], v[10:11], -v[2:3]
	v_fma_f64 v[21:22], v[0:1], 0.5, v[4:5]
	v_fma_f64 v[4:5], v[0:1], 0.5, -v[4:5]
	v_fma_f64 v[2:3], -v[8:9], v[6:7], v[19:20]
	v_fma_f64 v[6:7], -v[8:9], v[6:7], v[10:11]
	v_fma_f64 v[0:1], v[17:18], v[8:9], v[21:22]
	v_fma_f64 v[4:5], -v[17:18], v[8:9], v[4:5]
	ds_write_b128 v121, v[0:3]
	ds_write_b128 v12, v[4:7] offset:11648
	ds_read_b128 v[0:3], v120
	ds_read_b128 v[4:7], v12 offset:10816
	s_waitcnt lgkmcnt(0)
	v_add_f64 v[8:9], v[0:1], -v[4:5]
	v_add_f64 v[10:11], v[2:3], v[6:7]
	v_add_f64 v[2:3], v[2:3], -v[6:7]
	v_add_f64 v[0:1], v[0:1], v[4:5]
	v_mul_f64 v[6:7], v[8:9], 0.5
	v_mul_f64 v[8:9], v[10:11], 0.5
	;; [unrolled: 1-line block ×3, first 2 shown]
	s_waitcnt vmcnt(0)
	v_mul_f64 v[4:5], v[6:7], v[15:16]
	v_fma_f64 v[10:11], v[8:9], v[15:16], v[2:3]
	v_fma_f64 v[15:16], v[8:9], v[15:16], -v[2:3]
	v_fma_f64 v[17:18], v[0:1], 0.5, v[4:5]
	v_fma_f64 v[4:5], v[0:1], 0.5, -v[4:5]
	v_fma_f64 v[2:3], -v[13:14], v[6:7], v[10:11]
	v_fma_f64 v[6:7], -v[13:14], v[6:7], v[15:16]
	v_fma_f64 v[0:1], v[8:9], v[13:14], v[17:18]
	v_fma_f64 v[4:5], -v[8:9], v[13:14], v[4:5]
	ds_write_b128 v120, v[0:3]
	ds_write_b128 v12, v[4:7] offset:10816
	s_waitcnt lgkmcnt(0)
	s_barrier
	buffer_gl0_inv
	s_and_saveexec_b32 s0, vcc_lo
	s_cbranch_execz .LBB0_24
; %bb.22:
	v_mul_lo_u32 v2, s3, v140
	v_mul_lo_u32 v3, s2, v141
	v_mad_u64_u32 v[0:1], null, s2, v140, 0
	v_mov_b32_e32 v137, 0
	v_lshlrev_b64 v[10:11], 4, v[138:139]
	v_lshl_add_u32 v28, v136, 4, 0
	v_add_nc_u32_e32 v12, 52, v136
	v_add_nc_u32_e32 v14, 0x68, v136
	v_lshlrev_b64 v[16:17], 4, v[136:137]
	v_add3_u32 v1, v1, v3, v2
	v_mov_b32_e32 v13, v137
	v_mov_b32_e32 v15, v137
	ds_read_b128 v[2:5], v28
	ds_read_b128 v[6:9], v28 offset:832
	v_add_nc_u32_e32 v24, 0x9c, v136
	v_lshlrev_b64 v[0:1], 4, v[0:1]
	v_lshlrev_b64 v[18:19], 4, v[12:13]
	;; [unrolled: 1-line block ×3, first 2 shown]
	v_mov_b32_e32 v25, v137
	v_add_nc_u32_e32 v26, 0xd0, v136
	v_mov_b32_e32 v27, v137
	v_add_co_u32 v0, vcc_lo, s10, v0
	v_add_co_ci_u32_e32 v1, vcc_lo, s11, v1, vcc_lo
	v_lshlrev_b64 v[24:25], 4, v[24:25]
	v_add_co_u32 v0, vcc_lo, v0, v10
	v_add_co_ci_u32_e32 v1, vcc_lo, v1, v11, vcc_lo
	v_add_co_u32 v22, vcc_lo, v0, v16
	v_add_co_ci_u32_e32 v23, vcc_lo, v1, v17, vcc_lo
	ds_read_b128 v[10:13], v28 offset:1664
	ds_read_b128 v[14:17], v28 offset:2496
	v_add_co_u32 v18, vcc_lo, v0, v18
	v_add_co_ci_u32_e32 v19, vcc_lo, v1, v19, vcc_lo
	v_add_co_u32 v20, vcc_lo, v0, v20
	v_add_co_ci_u32_e32 v21, vcc_lo, v1, v21, vcc_lo
	v_add_co_u32 v24, vcc_lo, v0, v24
	v_add_co_ci_u32_e32 v25, vcc_lo, v1, v25, vcc_lo
	s_waitcnt lgkmcnt(3)
	global_store_dwordx4 v[22:23], v[2:5], off
	s_waitcnt lgkmcnt(2)
	global_store_dwordx4 v[18:19], v[6:9], off
	s_waitcnt lgkmcnt(1)
	global_store_dwordx4 v[20:21], v[10:13], off
	s_waitcnt lgkmcnt(0)
	global_store_dwordx4 v[24:25], v[14:17], off
	v_lshlrev_b64 v[2:3], 4, v[26:27]
	v_add_nc_u32_e32 v10, 0x104, v136
	v_mov_b32_e32 v11, v137
	v_add_nc_u32_e32 v12, 0x138, v136
	v_mov_b32_e32 v13, v137
	v_add_nc_u32_e32 v24, 0x16c, v136
	v_add_co_u32 v18, vcc_lo, v0, v2
	v_add_co_ci_u32_e32 v19, vcc_lo, v1, v3, vcc_lo
	ds_read_b128 v[2:5], v28 offset:3328
	ds_read_b128 v[6:9], v28 offset:4160
	v_lshlrev_b64 v[20:21], 4, v[10:11]
	v_lshlrev_b64 v[22:23], 4, v[12:13]
	ds_read_b128 v[10:13], v28 offset:4992
	ds_read_b128 v[14:17], v28 offset:5824
	v_mov_b32_e32 v25, v137
	v_add_nc_u32_e32 v26, 0x1a0, v136
	v_add_co_u32 v20, vcc_lo, v0, v20
	v_lshlrev_b64 v[24:25], 4, v[24:25]
	v_add_co_ci_u32_e32 v21, vcc_lo, v1, v21, vcc_lo
	v_add_co_u32 v22, vcc_lo, v0, v22
	v_add_co_ci_u32_e32 v23, vcc_lo, v1, v23, vcc_lo
	v_add_co_u32 v24, vcc_lo, v0, v24
	v_add_co_ci_u32_e32 v25, vcc_lo, v1, v25, vcc_lo
	s_waitcnt lgkmcnt(3)
	global_store_dwordx4 v[18:19], v[2:5], off
	s_waitcnt lgkmcnt(2)
	global_store_dwordx4 v[20:21], v[6:9], off
	s_waitcnt lgkmcnt(1)
	global_store_dwordx4 v[22:23], v[10:13], off
	s_waitcnt lgkmcnt(0)
	global_store_dwordx4 v[24:25], v[14:17], off
	v_lshlrev_b64 v[2:3], 4, v[26:27]
	v_add_nc_u32_e32 v10, 0x1d4, v136
	v_mov_b32_e32 v11, v137
	v_add_nc_u32_e32 v12, 0x208, v136
	v_mov_b32_e32 v13, v137
	v_add_nc_u32_e32 v24, 0x23c, v136
	v_add_co_u32 v18, vcc_lo, v0, v2
	v_add_co_ci_u32_e32 v19, vcc_lo, v1, v3, vcc_lo
	ds_read_b128 v[2:5], v28 offset:6656
	ds_read_b128 v[6:9], v28 offset:7488
	v_lshlrev_b64 v[20:21], 4, v[10:11]
	v_lshlrev_b64 v[22:23], 4, v[12:13]
	ds_read_b128 v[10:13], v28 offset:8320
	ds_read_b128 v[14:17], v28 offset:9152
	v_mov_b32_e32 v25, v137
	v_add_nc_u32_e32 v26, 0x270, v136
	v_add_co_u32 v20, vcc_lo, v0, v20
	v_lshlrev_b64 v[24:25], 4, v[24:25]
	v_add_co_ci_u32_e32 v21, vcc_lo, v1, v21, vcc_lo
	v_add_co_u32 v22, vcc_lo, v0, v22
	v_add_co_ci_u32_e32 v23, vcc_lo, v1, v23, vcc_lo
	v_add_co_u32 v24, vcc_lo, v0, v24
	v_add_co_ci_u32_e32 v25, vcc_lo, v1, v25, vcc_lo
	;; [unrolled: 31-line block ×4, first 2 shown]
	s_waitcnt lgkmcnt(3)
	global_store_dwordx4 v[18:19], v[2:5], off
	s_waitcnt lgkmcnt(2)
	global_store_dwordx4 v[20:21], v[6:9], off
	;; [unrolled: 2-line block ×4, first 2 shown]
	v_lshlrev_b64 v[2:3], 4, v[26:27]
	v_add_nc_u32_e32 v10, 0x444, v136
	v_mov_b32_e32 v11, v137
	v_add_nc_u32_e32 v12, 0x478, v136
	v_mov_b32_e32 v13, v137
	v_add_nc_u32_e32 v24, 0x4ac, v136
	v_add_co_u32 v18, vcc_lo, v0, v2
	v_add_co_ci_u32_e32 v19, vcc_lo, v1, v3, vcc_lo
	ds_read_b128 v[2:5], v28 offset:16640
	ds_read_b128 v[6:9], v28 offset:17472
	v_lshlrev_b64 v[20:21], 4, v[10:11]
	v_lshlrev_b64 v[22:23], 4, v[12:13]
	ds_read_b128 v[10:13], v28 offset:18304
	ds_read_b128 v[14:17], v28 offset:19136
	v_mov_b32_e32 v25, v137
	v_add_co_u32 v20, vcc_lo, v0, v20
	v_lshlrev_b64 v[24:25], 4, v[24:25]
	v_add_co_ci_u32_e32 v21, vcc_lo, v1, v21, vcc_lo
	v_add_co_u32 v22, vcc_lo, v0, v22
	v_add_co_ci_u32_e32 v23, vcc_lo, v1, v23, vcc_lo
	v_add_co_u32 v24, vcc_lo, v0, v24
	v_add_co_ci_u32_e32 v25, vcc_lo, v1, v25, vcc_lo
	v_cmp_eq_u32_e32 vcc_lo, 51, v136
	s_waitcnt lgkmcnt(3)
	global_store_dwordx4 v[18:19], v[2:5], off
	s_waitcnt lgkmcnt(2)
	global_store_dwordx4 v[20:21], v[6:9], off
	;; [unrolled: 2-line block ×4, first 2 shown]
	s_and_b32 exec_lo, exec_lo, vcc_lo
	s_cbranch_execz .LBB0_24
; %bb.23:
	ds_read_b128 v[2:5], v137 offset:19968
	v_add_co_u32 v0, vcc_lo, 0x4800, v0
	v_add_co_ci_u32_e32 v1, vcc_lo, 0, v1, vcc_lo
	s_waitcnt lgkmcnt(0)
	global_store_dwordx4 v[0:1], v[2:5], off offset:1536
.LBB0_24:
	s_endpgm
	.section	.rodata,"a",@progbits
	.p2align	6, 0x0
	.amdhsa_kernel fft_rtc_back_len1248_factors_2_2_13_2_3_2_2_wgs_52_tpt_52_halfLds_dp_op_CI_CI_unitstride_sbrr_R2C_dirReg
		.amdhsa_group_segment_fixed_size 0
		.amdhsa_private_segment_fixed_size 0
		.amdhsa_kernarg_size 104
		.amdhsa_user_sgpr_count 6
		.amdhsa_user_sgpr_private_segment_buffer 1
		.amdhsa_user_sgpr_dispatch_ptr 0
		.amdhsa_user_sgpr_queue_ptr 0
		.amdhsa_user_sgpr_kernarg_segment_ptr 1
		.amdhsa_user_sgpr_dispatch_id 0
		.amdhsa_user_sgpr_flat_scratch_init 0
		.amdhsa_user_sgpr_private_segment_size 0
		.amdhsa_wavefront_size32 1
		.amdhsa_uses_dynamic_stack 0
		.amdhsa_system_sgpr_private_segment_wavefront_offset 0
		.amdhsa_system_sgpr_workgroup_id_x 1
		.amdhsa_system_sgpr_workgroup_id_y 0
		.amdhsa_system_sgpr_workgroup_id_z 0
		.amdhsa_system_sgpr_workgroup_info 0
		.amdhsa_system_vgpr_workitem_id 0
		.amdhsa_next_free_vgpr 244
		.amdhsa_next_free_sgpr 46
		.amdhsa_reserve_vcc 1
		.amdhsa_reserve_flat_scratch 0
		.amdhsa_float_round_mode_32 0
		.amdhsa_float_round_mode_16_64 0
		.amdhsa_float_denorm_mode_32 3
		.amdhsa_float_denorm_mode_16_64 3
		.amdhsa_dx10_clamp 1
		.amdhsa_ieee_mode 1
		.amdhsa_fp16_overflow 0
		.amdhsa_workgroup_processor_mode 1
		.amdhsa_memory_ordered 1
		.amdhsa_forward_progress 0
		.amdhsa_shared_vgpr_count 0
		.amdhsa_exception_fp_ieee_invalid_op 0
		.amdhsa_exception_fp_denorm_src 0
		.amdhsa_exception_fp_ieee_div_zero 0
		.amdhsa_exception_fp_ieee_overflow 0
		.amdhsa_exception_fp_ieee_underflow 0
		.amdhsa_exception_fp_ieee_inexact 0
		.amdhsa_exception_int_div_zero 0
	.end_amdhsa_kernel
	.text
.Lfunc_end0:
	.size	fft_rtc_back_len1248_factors_2_2_13_2_3_2_2_wgs_52_tpt_52_halfLds_dp_op_CI_CI_unitstride_sbrr_R2C_dirReg, .Lfunc_end0-fft_rtc_back_len1248_factors_2_2_13_2_3_2_2_wgs_52_tpt_52_halfLds_dp_op_CI_CI_unitstride_sbrr_R2C_dirReg
                                        ; -- End function
	.section	.AMDGPU.csdata,"",@progbits
; Kernel info:
; codeLenInByte = 23908
; NumSgprs: 48
; NumVgprs: 244
; ScratchSize: 0
; MemoryBound: 0
; FloatMode: 240
; IeeeMode: 1
; LDSByteSize: 0 bytes/workgroup (compile time only)
; SGPRBlocks: 5
; VGPRBlocks: 30
; NumSGPRsForWavesPerEU: 48
; NumVGPRsForWavesPerEU: 244
; Occupancy: 4
; WaveLimiterHint : 1
; COMPUTE_PGM_RSRC2:SCRATCH_EN: 0
; COMPUTE_PGM_RSRC2:USER_SGPR: 6
; COMPUTE_PGM_RSRC2:TRAP_HANDLER: 0
; COMPUTE_PGM_RSRC2:TGID_X_EN: 1
; COMPUTE_PGM_RSRC2:TGID_Y_EN: 0
; COMPUTE_PGM_RSRC2:TGID_Z_EN: 0
; COMPUTE_PGM_RSRC2:TIDIG_COMP_CNT: 0
	.text
	.p2alignl 6, 3214868480
	.fill 48, 4, 3214868480
	.type	__hip_cuid_9c29417f79860eec,@object ; @__hip_cuid_9c29417f79860eec
	.section	.bss,"aw",@nobits
	.globl	__hip_cuid_9c29417f79860eec
__hip_cuid_9c29417f79860eec:
	.byte	0                               ; 0x0
	.size	__hip_cuid_9c29417f79860eec, 1

	.ident	"AMD clang version 19.0.0git (https://github.com/RadeonOpenCompute/llvm-project roc-6.4.0 25133 c7fe45cf4b819c5991fe208aaa96edf142730f1d)"
	.section	".note.GNU-stack","",@progbits
	.addrsig
	.addrsig_sym __hip_cuid_9c29417f79860eec
	.amdgpu_metadata
---
amdhsa.kernels:
  - .args:
      - .actual_access:  read_only
        .address_space:  global
        .offset:         0
        .size:           8
        .value_kind:     global_buffer
      - .offset:         8
        .size:           8
        .value_kind:     by_value
      - .actual_access:  read_only
        .address_space:  global
        .offset:         16
        .size:           8
        .value_kind:     global_buffer
      - .actual_access:  read_only
        .address_space:  global
        .offset:         24
        .size:           8
        .value_kind:     global_buffer
      - .actual_access:  read_only
        .address_space:  global
        .offset:         32
        .size:           8
        .value_kind:     global_buffer
      - .offset:         40
        .size:           8
        .value_kind:     by_value
      - .actual_access:  read_only
        .address_space:  global
        .offset:         48
        .size:           8
        .value_kind:     global_buffer
      - .actual_access:  read_only
        .address_space:  global
        .offset:         56
        .size:           8
        .value_kind:     global_buffer
      - .offset:         64
        .size:           4
        .value_kind:     by_value
      - .actual_access:  read_only
        .address_space:  global
        .offset:         72
        .size:           8
        .value_kind:     global_buffer
      - .actual_access:  read_only
        .address_space:  global
        .offset:         80
        .size:           8
        .value_kind:     global_buffer
      - .actual_access:  read_only
        .address_space:  global
        .offset:         88
        .size:           8
        .value_kind:     global_buffer
      - .actual_access:  write_only
        .address_space:  global
        .offset:         96
        .size:           8
        .value_kind:     global_buffer
    .group_segment_fixed_size: 0
    .kernarg_segment_align: 8
    .kernarg_segment_size: 104
    .language:       OpenCL C
    .language_version:
      - 2
      - 0
    .max_flat_workgroup_size: 52
    .name:           fft_rtc_back_len1248_factors_2_2_13_2_3_2_2_wgs_52_tpt_52_halfLds_dp_op_CI_CI_unitstride_sbrr_R2C_dirReg
    .private_segment_fixed_size: 0
    .sgpr_count:     48
    .sgpr_spill_count: 0
    .symbol:         fft_rtc_back_len1248_factors_2_2_13_2_3_2_2_wgs_52_tpt_52_halfLds_dp_op_CI_CI_unitstride_sbrr_R2C_dirReg.kd
    .uniform_work_group_size: 1
    .uses_dynamic_stack: false
    .vgpr_count:     244
    .vgpr_spill_count: 0
    .wavefront_size: 32
    .workgroup_processor_mode: 1
amdhsa.target:   amdgcn-amd-amdhsa--gfx1030
amdhsa.version:
  - 1
  - 2
...

	.end_amdgpu_metadata
